;; amdgpu-corpus repo=ROCm/rocSPARSE kind=compiled arch=gfx906 opt=O3
	.amdgcn_target "amdgcn-amd-amdhsa--gfx906"
	.amdhsa_code_object_version 6
	.section	.text._ZN9rocsparseL28coommnn_general_block_reduceILj1024EfifEEvT1_S1_PKS1_PKT0_PT2_ll16rocsparse_order_,"axG",@progbits,_ZN9rocsparseL28coommnn_general_block_reduceILj1024EfifEEvT1_S1_PKS1_PKT0_PT2_ll16rocsparse_order_,comdat
	.globl	_ZN9rocsparseL28coommnn_general_block_reduceILj1024EfifEEvT1_S1_PKS1_PKT0_PT2_ll16rocsparse_order_ ; -- Begin function _ZN9rocsparseL28coommnn_general_block_reduceILj1024EfifEEvT1_S1_PKS1_PKT0_PT2_ll16rocsparse_order_
	.p2align	8
	.type	_ZN9rocsparseL28coommnn_general_block_reduceILj1024EfifEEvT1_S1_PKS1_PKT0_PT2_ll16rocsparse_order_,@function
_ZN9rocsparseL28coommnn_general_block_reduceILj1024EfifEEvT1_S1_PKS1_PKT0_PT2_ll16rocsparse_order_: ; @_ZN9rocsparseL28coommnn_general_block_reduceILj1024EfifEEvT1_S1_PKS1_PKT0_PT2_ll16rocsparse_order_
; %bb.0:
	s_load_dwordx2 s[16:17], s[4:5], 0x0
	s_waitcnt lgkmcnt(0)
	s_cmp_lt_i32 s17, 1
	s_cbranch_scc1 .LBB0_52
; %bb.1:
	v_subrev_co_u32_e32 v1, vcc, 1, v0
	v_mov_b32_e32 v2, 0x1000
	s_load_dwordx8 s[8:15], s[4:5], 0x8
	s_load_dwordx2 s[2:3], s[4:5], 0x28
	s_load_dword s33, s[4:5], 0x30
	s_xor_b64 s[4:5], vcc, -1
	v_lshl_add_u32 v6, v1, 2, v2
	v_subrev_co_u32_e32 v1, vcc, 2, v0
	s_xor_b64 s[18:19], vcc, -1
	v_lshl_add_u32 v8, v1, 2, v2
	v_subrev_co_u32_e32 v1, vcc, 4, v0
	;; [unrolled: 3-line block ×3, first 2 shown]
	s_mul_i32 s0, s16, s7
	s_xor_b64 s[22:23], vcc, -1
	v_lshl_add_u32 v12, v1, 2, v2
	v_subrev_co_u32_e32 v1, vcc, 16, v0
	s_add_i32 s0, s0, s6
	s_xor_b64 s[24:25], vcc, -1
	v_lshl_add_u32 v14, v1, 2, v2
	v_subrev_co_u32_e32 v1, vcc, 32, v0
	s_mul_i32 s43, s0, s17
	s_xor_b64 s[26:27], vcc, -1
	v_lshl_add_u32 v16, v1, 2, v2
	v_subrev_co_u32_e32 v1, vcc, 64, v0
	s_movk_i32 s0, 0x80
	s_xor_b64 s[28:29], vcc, -1
	v_lshl_add_u32 v18, v1, 2, v2
	v_subrev_co_u32_e32 v1, vcc, s0, v0
	s_movk_i32 s0, 0x100
	;; [unrolled: 4-line block ×3, first 2 shown]
	s_xor_b64 s[34:35], vcc, -1
	v_lshl_add_u32 v22, v1, 2, v2
	v_subrev_co_u32_e32 v1, vcc, s0, v0
	s_xor_b64 s[36:37], vcc, -1
	s_waitcnt lgkmcnt(0)
	s_cmp_lg_u32 s33, 1
	s_mov_b32 s16, s7
	s_cselect_b64 s[38:39], -1, 0
	s_ashr_i32 s33, s16, 31
	s_mul_hi_u32 s40, s2, s16
	s_mul_i32 s33, s2, s33
	s_mul_i32 s42, s17, s7
	s_ashr_i32 s7, s6, 31
	s_add_i32 s33, s40, s33
	s_mul_i32 s3, s3, s16
	s_add_i32 s3, s33, s3
	s_lshl_b64 s[40:41], s[6:7], 2
	s_mul_i32 s2, s2, s16
	s_add_u32 s16, s12, s40
	s_addc_u32 s33, s13, s41
	s_lshl_b64 s[2:3], s[2:3], 2
	s_add_u32 s16, s16, s2
	s_mul_hi_u32 s40, s14, s6
	s_mul_i32 s7, s14, s7
	s_addc_u32 s33, s33, s3
	s_add_i32 s7, s40, s7
	s_mul_i32 s40, s15, s6
	s_add_i32 s7, s7, s40
	s_mul_i32 s6, s14, s6
	s_lshl_b64 s[6:7], s[6:7], 2
	s_add_u32 s6, s12, s6
	s_addc_u32 s7, s13, s7
	v_lshlrev_b32_e32 v3, 2, v0
	s_movk_i32 s0, 0x3ff
	s_add_u32 s12, s6, s2
	v_or_b32_e32 v4, 0x1000, v3
	v_add_u32_e32 v5, -4, v3
	v_add_u32_e32 v7, -8, v3
	;; [unrolled: 1-line block ×3, first 2 shown]
	v_subrev_u32_e32 v11, 32, v3
	v_subrev_u32_e32 v13, 64, v3
	v_add_u32_e32 v15, 0xffffff80, v3
	v_add_u32_e32 v17, 0xffffff00, v3
	;; [unrolled: 1-line block ×5, first 2 shown]
	v_lshl_add_u32 v24, v1, 2, v2
	v_cmp_ne_u32_e64 s[0:1], s0, v0
	s_addc_u32 s13, s7, s3
	v_add_u32_e32 v25, s42, v0
	v_add_u32_e32 v26, s43, v0
	s_mov_b32 s40, 0
	v_mov_b32_e32 v2, 0
	s_branch .LBB0_3
.LBB0_2:                                ;   in Loop: Header=BB0_3 Depth=1
	s_or_b64 exec, exec, s[2:3]
	s_addk_i32 s40, 0x400
	s_cmp_ge_i32 s40, s17
	s_waitcnt vmcnt(0) lgkmcnt(0)
	s_barrier
	s_cbranch_scc1 .LBB0_52
.LBB0_3:                                ; =>This Inner Loop Header: Depth=1
	v_add_u32_e32 v1, s40, v0
	v_cmp_gt_i32_e32 vcc, s17, v1
	v_mov_b32_e32 v1, -1
	v_mov_b32_e32 v27, 0
	s_and_saveexec_b64 s[2:3], vcc
	s_cbranch_execz .LBB0_5
; %bb.4:                                ;   in Loop: Header=BB0_3 Depth=1
	v_add_u32_e32 v27, s40, v25
	v_ashrrev_i32_e32 v28, 31, v27
	v_lshlrev_b64 v[27:28], 2, v[27:28]
	v_mov_b32_e32 v1, s9
	v_add_co_u32_e32 v27, vcc, s8, v27
	v_addc_co_u32_e32 v28, vcc, v1, v28, vcc
	global_load_dword v1, v[27:28], off
	v_add_u32_e32 v27, s40, v26
	v_ashrrev_i32_e32 v28, 31, v27
	v_lshlrev_b64 v[27:28], 2, v[27:28]
	v_mov_b32_e32 v29, s11
	v_add_co_u32_e32 v27, vcc, s10, v27
	v_addc_co_u32_e32 v28, vcc, v29, v28, vcc
	global_load_dword v27, v[27:28], off
.LBB0_5:                                ;   in Loop: Header=BB0_3 Depth=1
	s_or_b64 exec, exec, s[2:3]
	s_waitcnt vmcnt(1)
	ds_write_b32 v3, v1
	s_waitcnt vmcnt(0)
	ds_write_b32 v4, v27
	v_mov_b32_e32 v1, 0
	v_mov_b32_e32 v27, 0
	s_waitcnt lgkmcnt(0)
	s_barrier
	s_and_saveexec_b64 s[2:3], s[4:5]
	s_cbranch_execz .LBB0_9
; %bb.6:                                ;   in Loop: Header=BB0_3 Depth=1
	ds_read2_b32 v[27:28], v5 offset1:1
	s_waitcnt lgkmcnt(0)
	v_cmp_eq_u32_e32 vcc, v28, v27
	v_mov_b32_e32 v27, 0
	s_and_saveexec_b64 s[6:7], vcc
; %bb.7:                                ;   in Loop: Header=BB0_3 Depth=1
	ds_read_b32 v27, v6
; %bb.8:                                ;   in Loop: Header=BB0_3 Depth=1
	s_or_b64 exec, exec, s[6:7]
.LBB0_9:                                ;   in Loop: Header=BB0_3 Depth=1
	s_or_b64 exec, exec, s[2:3]
	s_waitcnt lgkmcnt(0)
	s_barrier
	ds_read_b32 v28, v4
	s_waitcnt lgkmcnt(0)
	v_add_f32_e32 v27, v27, v28
	ds_write_b32 v4, v27
	s_waitcnt lgkmcnt(0)
	s_barrier
	s_and_saveexec_b64 s[2:3], s[18:19]
	s_cbranch_execz .LBB0_13
; %bb.10:                               ;   in Loop: Header=BB0_3 Depth=1
	ds_read_b32 v1, v3
	ds_read_b32 v27, v7
	s_waitcnt lgkmcnt(0)
	v_cmp_eq_u32_e32 vcc, v1, v27
	v_mov_b32_e32 v1, 0
	s_and_saveexec_b64 s[6:7], vcc
; %bb.11:                               ;   in Loop: Header=BB0_3 Depth=1
	ds_read_b32 v1, v8
; %bb.12:                               ;   in Loop: Header=BB0_3 Depth=1
	s_or_b64 exec, exec, s[6:7]
.LBB0_13:                               ;   in Loop: Header=BB0_3 Depth=1
	s_or_b64 exec, exec, s[2:3]
	s_waitcnt lgkmcnt(0)
	s_barrier
	ds_read_b32 v27, v4
	s_waitcnt lgkmcnt(0)
	v_add_f32_e32 v1, v1, v27
	ds_write_b32 v4, v1
	v_mov_b32_e32 v1, 0
	v_mov_b32_e32 v27, 0
	s_waitcnt lgkmcnt(0)
	s_barrier
	s_and_saveexec_b64 s[2:3], s[20:21]
	s_cbranch_execz .LBB0_17
; %bb.14:                               ;   in Loop: Header=BB0_3 Depth=1
	ds_read_b32 v27, v3
	ds_read_b32 v28, v9
	s_waitcnt lgkmcnt(0)
	v_cmp_eq_u32_e32 vcc, v27, v28
	v_mov_b32_e32 v27, 0
	s_and_saveexec_b64 s[6:7], vcc
; %bb.15:                               ;   in Loop: Header=BB0_3 Depth=1
	ds_read_b32 v27, v10
; %bb.16:                               ;   in Loop: Header=BB0_3 Depth=1
	s_or_b64 exec, exec, s[6:7]
.LBB0_17:                               ;   in Loop: Header=BB0_3 Depth=1
	s_or_b64 exec, exec, s[2:3]
	s_waitcnt lgkmcnt(0)
	s_barrier
	ds_read_b32 v28, v4
	s_waitcnt lgkmcnt(0)
	v_add_f32_e32 v27, v27, v28
	ds_write_b32 v4, v27
	s_waitcnt lgkmcnt(0)
	s_barrier
	s_and_saveexec_b64 s[2:3], s[22:23]
	s_cbranch_execz .LBB0_21
; %bb.18:                               ;   in Loop: Header=BB0_3 Depth=1
	ds_read_b32 v1, v3
	ds_read_b32 v27, v11
	s_waitcnt lgkmcnt(0)
	v_cmp_eq_u32_e32 vcc, v1, v27
	v_mov_b32_e32 v1, 0
	s_and_saveexec_b64 s[6:7], vcc
; %bb.19:                               ;   in Loop: Header=BB0_3 Depth=1
	ds_read_b32 v1, v12
; %bb.20:                               ;   in Loop: Header=BB0_3 Depth=1
	s_or_b64 exec, exec, s[6:7]
.LBB0_21:                               ;   in Loop: Header=BB0_3 Depth=1
	s_or_b64 exec, exec, s[2:3]
	s_waitcnt lgkmcnt(0)
	s_barrier
	ds_read_b32 v27, v4
	s_waitcnt lgkmcnt(0)
	v_add_f32_e32 v1, v1, v27
	ds_write_b32 v4, v1
	v_mov_b32_e32 v1, 0
	v_mov_b32_e32 v27, 0
	s_waitcnt lgkmcnt(0)
	s_barrier
	s_and_saveexec_b64 s[2:3], s[24:25]
	s_cbranch_execz .LBB0_25
; %bb.22:                               ;   in Loop: Header=BB0_3 Depth=1
	ds_read_b32 v27, v3
	ds_read_b32 v28, v13
	s_waitcnt lgkmcnt(0)
	v_cmp_eq_u32_e32 vcc, v27, v28
	v_mov_b32_e32 v27, 0
	s_and_saveexec_b64 s[6:7], vcc
; %bb.23:                               ;   in Loop: Header=BB0_3 Depth=1
	ds_read_b32 v27, v14
; %bb.24:                               ;   in Loop: Header=BB0_3 Depth=1
	s_or_b64 exec, exec, s[6:7]
.LBB0_25:                               ;   in Loop: Header=BB0_3 Depth=1
	;; [unrolled: 48-line block ×4, first 2 shown]
	s_or_b64 exec, exec, s[2:3]
	s_waitcnt lgkmcnt(0)
	s_barrier
	ds_read_b32 v28, v4
	s_waitcnt lgkmcnt(0)
	v_add_f32_e32 v27, v27, v28
	ds_write_b32 v4, v27
	s_waitcnt lgkmcnt(0)
	s_barrier
	s_and_saveexec_b64 s[2:3], s[36:37]
	s_cbranch_execz .LBB0_45
; %bb.42:                               ;   in Loop: Header=BB0_3 Depth=1
	ds_read_b32 v1, v3
	ds_read_b32 v27, v23
	s_waitcnt lgkmcnt(0)
	v_cmp_eq_u32_e32 vcc, v1, v27
	v_mov_b32_e32 v1, 0
	s_and_saveexec_b64 s[6:7], vcc
; %bb.43:                               ;   in Loop: Header=BB0_3 Depth=1
	ds_read_b32 v1, v24
; %bb.44:                               ;   in Loop: Header=BB0_3 Depth=1
	s_or_b64 exec, exec, s[6:7]
.LBB0_45:                               ;   in Loop: Header=BB0_3 Depth=1
	s_or_b64 exec, exec, s[2:3]
	s_waitcnt lgkmcnt(0)
	s_barrier
	ds_read_b32 v27, v4
	s_waitcnt lgkmcnt(0)
	v_add_f32_e32 v1, v1, v27
	ds_write_b32 v4, v1
	s_waitcnt lgkmcnt(0)
	s_barrier
	ds_read_b32 v1, v3
	v_mov_b32_e32 v27, -1
	s_and_saveexec_b64 s[2:3], s[0:1]
; %bb.46:                               ;   in Loop: Header=BB0_3 Depth=1
	ds_read_b32 v27, v3 offset:4
; %bb.47:                               ;   in Loop: Header=BB0_3 Depth=1
	s_or_b64 exec, exec, s[2:3]
	s_waitcnt lgkmcnt(0)
	v_cmp_ne_u32_e32 vcc, v1, v27
	v_cmp_lt_i32_e64 s[2:3], -1, v1
	s_and_b64 s[6:7], s[2:3], vcc
	s_and_saveexec_b64 s[2:3], s[6:7]
	s_cbranch_execz .LBB0_2
; %bb.48:                               ;   in Loop: Header=BB0_3 Depth=1
	ds_read_b32 v27, v4
	s_mov_b64 s[6:7], -1
	s_and_b64 vcc, exec, s[38:39]
	s_cbranch_vccz .LBB0_50
; %bb.49:                               ;   in Loop: Header=BB0_3 Depth=1
	v_mad_u64_u32 v[28:29], s[6:7], s14, v1, 0
	v_mad_u64_u32 v[29:30], s[6:7], s15, v1, v[29:30]
	v_mov_b32_e32 v30, s33
	s_mov_b64 s[6:7], 0
	v_lshlrev_b64 v[28:29], 2, v[28:29]
	v_add_co_u32_e32 v28, vcc, s16, v28
	v_addc_co_u32_e32 v29, vcc, v30, v29, vcc
	global_load_dword v30, v[28:29], off
	s_waitcnt vmcnt(0) lgkmcnt(0)
	v_add_f32_e32 v30, v27, v30
	global_store_dword v[28:29], v30, off
.LBB0_50:                               ;   in Loop: Header=BB0_3 Depth=1
	s_andn2_b64 vcc, exec, s[6:7]
	s_cbranch_vccnz .LBB0_2
; %bb.51:                               ;   in Loop: Header=BB0_3 Depth=1
	v_lshlrev_b64 v[28:29], 2, v[1:2]
	v_mov_b32_e32 v1, s13
	v_add_co_u32_e32 v28, vcc, s12, v28
	v_addc_co_u32_e32 v29, vcc, v1, v29, vcc
	global_load_dword v1, v[28:29], off
	s_waitcnt vmcnt(0) lgkmcnt(0)
	v_add_f32_e32 v1, v27, v1
	global_store_dword v[28:29], v1, off
	s_branch .LBB0_2
.LBB0_52:
	s_endpgm
	.section	.rodata,"a",@progbits
	.p2align	6, 0x0
	.amdhsa_kernel _ZN9rocsparseL28coommnn_general_block_reduceILj1024EfifEEvT1_S1_PKS1_PKT0_PT2_ll16rocsparse_order_
		.amdhsa_group_segment_fixed_size 8192
		.amdhsa_private_segment_fixed_size 0
		.amdhsa_kernarg_size 52
		.amdhsa_user_sgpr_count 6
		.amdhsa_user_sgpr_private_segment_buffer 1
		.amdhsa_user_sgpr_dispatch_ptr 0
		.amdhsa_user_sgpr_queue_ptr 0
		.amdhsa_user_sgpr_kernarg_segment_ptr 1
		.amdhsa_user_sgpr_dispatch_id 0
		.amdhsa_user_sgpr_flat_scratch_init 0
		.amdhsa_user_sgpr_private_segment_size 0
		.amdhsa_uses_dynamic_stack 0
		.amdhsa_system_sgpr_private_segment_wavefront_offset 0
		.amdhsa_system_sgpr_workgroup_id_x 1
		.amdhsa_system_sgpr_workgroup_id_y 0
		.amdhsa_system_sgpr_workgroup_id_z 1
		.amdhsa_system_sgpr_workgroup_info 0
		.amdhsa_system_vgpr_workitem_id 0
		.amdhsa_next_free_vgpr 31
		.amdhsa_next_free_sgpr 61
		.amdhsa_reserve_vcc 1
		.amdhsa_reserve_flat_scratch 0
		.amdhsa_float_round_mode_32 0
		.amdhsa_float_round_mode_16_64 0
		.amdhsa_float_denorm_mode_32 3
		.amdhsa_float_denorm_mode_16_64 3
		.amdhsa_dx10_clamp 1
		.amdhsa_ieee_mode 1
		.amdhsa_fp16_overflow 0
		.amdhsa_exception_fp_ieee_invalid_op 0
		.amdhsa_exception_fp_denorm_src 0
		.amdhsa_exception_fp_ieee_div_zero 0
		.amdhsa_exception_fp_ieee_overflow 0
		.amdhsa_exception_fp_ieee_underflow 0
		.amdhsa_exception_fp_ieee_inexact 0
		.amdhsa_exception_int_div_zero 0
	.end_amdhsa_kernel
	.section	.text._ZN9rocsparseL28coommnn_general_block_reduceILj1024EfifEEvT1_S1_PKS1_PKT0_PT2_ll16rocsparse_order_,"axG",@progbits,_ZN9rocsparseL28coommnn_general_block_reduceILj1024EfifEEvT1_S1_PKS1_PKT0_PT2_ll16rocsparse_order_,comdat
.Lfunc_end0:
	.size	_ZN9rocsparseL28coommnn_general_block_reduceILj1024EfifEEvT1_S1_PKS1_PKT0_PT2_ll16rocsparse_order_, .Lfunc_end0-_ZN9rocsparseL28coommnn_general_block_reduceILj1024EfifEEvT1_S1_PKS1_PKT0_PT2_ll16rocsparse_order_
                                        ; -- End function
	.set _ZN9rocsparseL28coommnn_general_block_reduceILj1024EfifEEvT1_S1_PKS1_PKT0_PT2_ll16rocsparse_order_.num_vgpr, 31
	.set _ZN9rocsparseL28coommnn_general_block_reduceILj1024EfifEEvT1_S1_PKS1_PKT0_PT2_ll16rocsparse_order_.num_agpr, 0
	.set _ZN9rocsparseL28coommnn_general_block_reduceILj1024EfifEEvT1_S1_PKS1_PKT0_PT2_ll16rocsparse_order_.numbered_sgpr, 44
	.set _ZN9rocsparseL28coommnn_general_block_reduceILj1024EfifEEvT1_S1_PKS1_PKT0_PT2_ll16rocsparse_order_.num_named_barrier, 0
	.set _ZN9rocsparseL28coommnn_general_block_reduceILj1024EfifEEvT1_S1_PKS1_PKT0_PT2_ll16rocsparse_order_.private_seg_size, 0
	.set _ZN9rocsparseL28coommnn_general_block_reduceILj1024EfifEEvT1_S1_PKS1_PKT0_PT2_ll16rocsparse_order_.uses_vcc, 1
	.set _ZN9rocsparseL28coommnn_general_block_reduceILj1024EfifEEvT1_S1_PKS1_PKT0_PT2_ll16rocsparse_order_.uses_flat_scratch, 0
	.set _ZN9rocsparseL28coommnn_general_block_reduceILj1024EfifEEvT1_S1_PKS1_PKT0_PT2_ll16rocsparse_order_.has_dyn_sized_stack, 0
	.set _ZN9rocsparseL28coommnn_general_block_reduceILj1024EfifEEvT1_S1_PKS1_PKT0_PT2_ll16rocsparse_order_.has_recursion, 0
	.set _ZN9rocsparseL28coommnn_general_block_reduceILj1024EfifEEvT1_S1_PKS1_PKT0_PT2_ll16rocsparse_order_.has_indirect_call, 0
	.section	.AMDGPU.csdata,"",@progbits
; Kernel info:
; codeLenInByte = 1808
; TotalNumSgprs: 48
; NumVgprs: 31
; ScratchSize: 0
; MemoryBound: 0
; FloatMode: 240
; IeeeMode: 1
; LDSByteSize: 8192 bytes/workgroup (compile time only)
; SGPRBlocks: 8
; VGPRBlocks: 7
; NumSGPRsForWavesPerEU: 65
; NumVGPRsForWavesPerEU: 31
; Occupancy: 8
; WaveLimiterHint : 0
; COMPUTE_PGM_RSRC2:SCRATCH_EN: 0
; COMPUTE_PGM_RSRC2:USER_SGPR: 6
; COMPUTE_PGM_RSRC2:TRAP_HANDLER: 0
; COMPUTE_PGM_RSRC2:TGID_X_EN: 1
; COMPUTE_PGM_RSRC2:TGID_Y_EN: 0
; COMPUTE_PGM_RSRC2:TGID_Z_EN: 1
; COMPUTE_PGM_RSRC2:TIDIG_COMP_CNT: 0
	.section	.text._ZN9rocsparseL28coommnn_general_block_reduceILj1024EflfEEvT1_S1_PKS1_PKT0_PT2_ll16rocsparse_order_,"axG",@progbits,_ZN9rocsparseL28coommnn_general_block_reduceILj1024EflfEEvT1_S1_PKS1_PKT0_PT2_ll16rocsparse_order_,comdat
	.globl	_ZN9rocsparseL28coommnn_general_block_reduceILj1024EflfEEvT1_S1_PKS1_PKT0_PT2_ll16rocsparse_order_ ; -- Begin function _ZN9rocsparseL28coommnn_general_block_reduceILj1024EflfEEvT1_S1_PKS1_PKT0_PT2_ll16rocsparse_order_
	.p2align	8
	.type	_ZN9rocsparseL28coommnn_general_block_reduceILj1024EflfEEvT1_S1_PKS1_PKT0_PT2_ll16rocsparse_order_,@function
_ZN9rocsparseL28coommnn_general_block_reduceILj1024EflfEEvT1_S1_PKS1_PKT0_PT2_ll16rocsparse_order_: ; @_ZN9rocsparseL28coommnn_general_block_reduceILj1024EflfEEvT1_S1_PKS1_PKT0_PT2_ll16rocsparse_order_
; %bb.0:
	s_load_dwordx4 s[16:19], s[4:5], 0x0
	s_waitcnt lgkmcnt(0)
	v_cmp_lt_i64_e64 s[0:1], s[18:19], 1
	s_and_b64 vcc, exec, s[0:1]
	s_cbranch_vccnz .LBB1_52
; %bb.1:
	s_load_dwordx8 s[8:15], s[4:5], 0x10
	s_load_dwordx2 s[44:45], s[4:5], 0x30
	s_load_dword s3, s[4:5], 0x38
	s_mov_b32 s2, s7
	s_mov_b32 s7, 0
	s_lshl_b64 s[42:43], s[6:7], 2
	s_waitcnt lgkmcnt(0)
	s_add_u32 s7, s12, s42
	v_subrev_co_u32_e32 v1, vcc, 1, v0
	v_mov_b32_e32 v2, 0x2000
	s_addc_u32 s48, s13, s43
	s_xor_b64 s[4:5], vcc, -1
	v_lshl_add_u32 v11, v1, 2, v2
	v_subrev_co_u32_e32 v1, vcc, 2, v0
	s_xor_b64 s[20:21], vcc, -1
	v_lshl_add_u32 v12, v1, 2, v2
	v_subrev_co_u32_e32 v1, vcc, 4, v0
	;; [unrolled: 3-line block ×6, first 2 shown]
	s_movk_i32 s0, 0x80
	s_xor_b64 s[30:31], vcc, -1
	v_lshl_add_u32 v22, v1, 2, v2
	v_subrev_co_u32_e32 v1, vcc, s0, v0
	s_movk_i32 s0, 0x100
	s_xor_b64 s[34:35], vcc, -1
	v_lshl_add_u32 v24, v1, 2, v2
	v_subrev_co_u32_e32 v1, vcc, s0, v0
	;; [unrolled: 4-line block ×3, first 2 shown]
	s_ashr_i32 s49, s2, 31
	s_xor_b64 s[38:39], vcc, -1
	s_cmp_lg_u32 s3, 1
	s_mul_hi_u32 s3, s44, s2
	s_mul_i32 s33, s44, s49
	s_cselect_b64 s[40:41], -1, 0
	s_add_i32 s3, s3, s33
	s_mul_i32 s33, s45, s2
	s_add_i32 s45, s3, s33
	s_mul_i32 s44, s44, s2
	s_lshl_b64 s[46:47], s[44:45], 2
	s_add_u32 s33, s7, s46
	s_mul_i32 s3, s15, s6
	s_mul_hi_u32 s7, s14, s6
	s_addc_u32 s44, s48, s47
	s_add_i32 s7, s7, s3
	s_mul_i32 s6, s14, s6
	s_lshl_b64 s[6:7], s[6:7], 2
	s_add_u32 s3, s12, s6
	s_addc_u32 s6, s13, s7
	s_add_u32 s12, s3, s46
	s_addc_u32 s13, s6, s47
	s_mul_hi_u32 s3, s18, s2
	s_mul_i32 s6, s18, s49
	s_add_i32 s3, s3, s6
	s_mul_i32 s6, s19, s2
	s_add_i32 s7, s3, s6
	s_mul_i32 s6, s18, s2
	s_lshl_b64 s[6:7], s[6:7], 3
	s_add_u32 s3, s8, s6
	v_lshlrev_b32_e32 v9, 3, v0
	s_addc_u32 s6, s9, s7
	v_lshl_add_u32 v28, v1, 2, v2
	v_mov_b32_e32 v2, s6
	v_add_co_u32_e32 v1, vcc, s3, v9
	s_mul_hi_u32 s3, s16, s2
	s_mul_i32 s6, s16, s49
	s_add_i32 s3, s3, s6
	s_mul_i32 s6, s17, s2
	s_add_i32 s3, s3, s6
	s_mul_i32 s2, s16, s2
	s_lshl_b64 s[2:3], s[2:3], 2
	s_add_u32 s2, s2, s42
	s_addc_u32 s3, s3, s43
	s_mul_i32 s3, s18, s3
	s_mul_hi_u32 s6, s18, s2
	s_add_i32 s3, s6, s3
	s_mul_i32 s6, s19, s2
	s_add_i32 s3, s3, s6
	s_mul_i32 s2, s18, s2
	s_add_u32 s2, s10, s2
	v_lshlrev_b32_e32 v3, 2, v0
	v_addc_co_u32_e32 v2, vcc, 0, v2, vcc
	s_addc_u32 s3, s11, s3
	v_or_b32_e32 v10, 0x2000, v3
	s_movk_i32 s0, 0x3ff
	v_mov_b32_e32 v4, s3
	v_add_co_u32_e32 v3, vcc, s2, v3
	v_subrev_u32_e32 v13, 32, v9
	v_subrev_u32_e32 v15, 64, v9
	v_add_u32_e32 v17, 0xffffff80, v9
	v_add_u32_e32 v19, 0xffffff00, v9
	;; [unrolled: 1-line block ×6, first 2 shown]
	v_cmp_ne_u32_e64 s[0:1], s0, v0
	v_addc_co_u32_e32 v4, vcc, 0, v4, vcc
	s_mov_b64 s[6:7], 0
	s_branch .LBB1_3
.LBB1_2:                                ;   in Loop: Header=BB1_3 Depth=1
	s_or_b64 exec, exec, s[2:3]
	s_add_u32 s6, s6, 0x400
	v_add_co_u32_e32 v1, vcc, 0x2000, v1
	v_mov_b32_e32 v5, s18
	s_addc_u32 s7, s7, 0
	v_addc_co_u32_e32 v2, vcc, 0, v2, vcc
	v_mov_b32_e32 v6, s19
	v_add_co_u32_e32 v3, vcc, 0x1000, v3
	v_cmp_ge_i64_e64 s[2:3], s[6:7], v[5:6]
	v_addc_co_u32_e32 v4, vcc, 0, v4, vcc
	s_and_b64 vcc, exec, s[2:3]
	s_waitcnt vmcnt(0) lgkmcnt(0)
	s_barrier
	s_cbranch_vccnz .LBB1_52
.LBB1_3:                                ; =>This Inner Loop Header: Depth=1
	v_mov_b32_e32 v6, s7
	v_add_co_u32_e32 v5, vcc, s6, v0
	v_addc_co_u32_e32 v6, vcc, 0, v6, vcc
	v_cmp_gt_i64_e32 vcc, s[18:19], v[5:6]
	v_mov_b32_e32 v5, -1
	v_mov_b32_e32 v6, -1
	v_mov_b32_e32 v7, 0
	s_and_saveexec_b64 s[2:3], vcc
	s_cbranch_execz .LBB1_5
; %bb.4:                                ;   in Loop: Header=BB1_3 Depth=1
	global_load_dwordx2 v[5:6], v[1:2], off
	global_load_dword v7, v[3:4], off
.LBB1_5:                                ;   in Loop: Header=BB1_3 Depth=1
	s_or_b64 exec, exec, s[2:3]
	s_waitcnt vmcnt(1)
	ds_write_b64 v9, v[5:6]
	s_waitcnt vmcnt(0)
	ds_write_b32 v10, v7
	v_mov_b32_e32 v5, 0
	v_mov_b32_e32 v6, 0
	s_waitcnt lgkmcnt(0)
	s_barrier
	s_and_saveexec_b64 s[2:3], s[4:5]
	s_cbranch_execz .LBB1_9
; %bb.6:                                ;   in Loop: Header=BB1_3 Depth=1
	v_add_u32_e32 v6, -8, v9
	ds_read2_b64 v[29:32], v6 offset1:1
	v_mov_b32_e32 v6, 0
	s_waitcnt lgkmcnt(0)
	v_cmp_eq_u64_e32 vcc, v[31:32], v[29:30]
	s_and_saveexec_b64 s[8:9], vcc
; %bb.7:                                ;   in Loop: Header=BB1_3 Depth=1
	ds_read_b32 v6, v11
; %bb.8:                                ;   in Loop: Header=BB1_3 Depth=1
	s_or_b64 exec, exec, s[8:9]
.LBB1_9:                                ;   in Loop: Header=BB1_3 Depth=1
	s_or_b64 exec, exec, s[2:3]
	s_waitcnt lgkmcnt(0)
	s_barrier
	ds_read_b32 v7, v10
	s_waitcnt lgkmcnt(0)
	v_add_f32_e32 v6, v6, v7
	ds_write_b32 v10, v6
	s_waitcnt lgkmcnt(0)
	s_barrier
	s_and_saveexec_b64 s[2:3], s[20:21]
	s_cbranch_execz .LBB1_13
; %bb.10:                               ;   in Loop: Header=BB1_3 Depth=1
	v_add_u32_e32 v7, -16, v9
	ds_read_b64 v[5:6], v9
	ds_read_b64 v[7:8], v7
	s_waitcnt lgkmcnt(0)
	v_cmp_eq_u64_e32 vcc, v[5:6], v[7:8]
	v_mov_b32_e32 v5, 0
	s_and_saveexec_b64 s[8:9], vcc
; %bb.11:                               ;   in Loop: Header=BB1_3 Depth=1
	ds_read_b32 v5, v12
; %bb.12:                               ;   in Loop: Header=BB1_3 Depth=1
	s_or_b64 exec, exec, s[8:9]
.LBB1_13:                               ;   in Loop: Header=BB1_3 Depth=1
	s_or_b64 exec, exec, s[2:3]
	s_waitcnt lgkmcnt(0)
	s_barrier
	ds_read_b32 v6, v10
	s_waitcnt lgkmcnt(0)
	v_add_f32_e32 v5, v5, v6
	ds_write_b32 v10, v5
	v_mov_b32_e32 v5, 0
	v_mov_b32_e32 v6, 0
	s_waitcnt lgkmcnt(0)
	s_barrier
	s_and_saveexec_b64 s[2:3], s[22:23]
	s_cbranch_execz .LBB1_17
; %bb.14:                               ;   in Loop: Header=BB1_3 Depth=1
	ds_read_b64 v[6:7], v9
	ds_read_b64 v[29:30], v13
	s_waitcnt lgkmcnt(0)
	v_cmp_eq_u64_e32 vcc, v[6:7], v[29:30]
	v_mov_b32_e32 v6, 0
	s_and_saveexec_b64 s[8:9], vcc
; %bb.15:                               ;   in Loop: Header=BB1_3 Depth=1
	ds_read_b32 v6, v14
; %bb.16:                               ;   in Loop: Header=BB1_3 Depth=1
	s_or_b64 exec, exec, s[8:9]
.LBB1_17:                               ;   in Loop: Header=BB1_3 Depth=1
	s_or_b64 exec, exec, s[2:3]
	s_waitcnt lgkmcnt(0)
	s_barrier
	ds_read_b32 v7, v10
	s_waitcnt lgkmcnt(0)
	v_add_f32_e32 v6, v6, v7
	ds_write_b32 v10, v6
	s_waitcnt lgkmcnt(0)
	s_barrier
	s_and_saveexec_b64 s[2:3], s[24:25]
	s_cbranch_execz .LBB1_21
; %bb.18:                               ;   in Loop: Header=BB1_3 Depth=1
	ds_read_b64 v[5:6], v9
	ds_read_b64 v[7:8], v15
	s_waitcnt lgkmcnt(0)
	v_cmp_eq_u64_e32 vcc, v[5:6], v[7:8]
	v_mov_b32_e32 v5, 0
	s_and_saveexec_b64 s[8:9], vcc
; %bb.19:                               ;   in Loop: Header=BB1_3 Depth=1
	ds_read_b32 v5, v16
; %bb.20:                               ;   in Loop: Header=BB1_3 Depth=1
	s_or_b64 exec, exec, s[8:9]
.LBB1_21:                               ;   in Loop: Header=BB1_3 Depth=1
	s_or_b64 exec, exec, s[2:3]
	s_waitcnt lgkmcnt(0)
	s_barrier
	ds_read_b32 v6, v10
	s_waitcnt lgkmcnt(0)
	v_add_f32_e32 v5, v5, v6
	ds_write_b32 v10, v5
	v_mov_b32_e32 v5, 0
	v_mov_b32_e32 v6, 0
	s_waitcnt lgkmcnt(0)
	s_barrier
	s_and_saveexec_b64 s[2:3], s[26:27]
	s_cbranch_execz .LBB1_25
; %bb.22:                               ;   in Loop: Header=BB1_3 Depth=1
	ds_read_b64 v[6:7], v9
	ds_read_b64 v[29:30], v17
	s_waitcnt lgkmcnt(0)
	v_cmp_eq_u64_e32 vcc, v[6:7], v[29:30]
	v_mov_b32_e32 v6, 0
	s_and_saveexec_b64 s[8:9], vcc
; %bb.23:                               ;   in Loop: Header=BB1_3 Depth=1
	ds_read_b32 v6, v18
; %bb.24:                               ;   in Loop: Header=BB1_3 Depth=1
	s_or_b64 exec, exec, s[8:9]
.LBB1_25:                               ;   in Loop: Header=BB1_3 Depth=1
	s_or_b64 exec, exec, s[2:3]
	s_waitcnt lgkmcnt(0)
	s_barrier
	ds_read_b32 v7, v10
	s_waitcnt lgkmcnt(0)
	v_add_f32_e32 v6, v6, v7
	ds_write_b32 v10, v6
	s_waitcnt lgkmcnt(0)
	s_barrier
	s_and_saveexec_b64 s[2:3], s[28:29]
	s_cbranch_execz .LBB1_29
; %bb.26:                               ;   in Loop: Header=BB1_3 Depth=1
	ds_read_b64 v[5:6], v9
	ds_read_b64 v[7:8], v19
	s_waitcnt lgkmcnt(0)
	v_cmp_eq_u64_e32 vcc, v[5:6], v[7:8]
	v_mov_b32_e32 v5, 0
	s_and_saveexec_b64 s[8:9], vcc
; %bb.27:                               ;   in Loop: Header=BB1_3 Depth=1
	ds_read_b32 v5, v20
; %bb.28:                               ;   in Loop: Header=BB1_3 Depth=1
	s_or_b64 exec, exec, s[8:9]
.LBB1_29:                               ;   in Loop: Header=BB1_3 Depth=1
	;; [unrolled: 48-line block ×4, first 2 shown]
	s_or_b64 exec, exec, s[2:3]
	s_waitcnt lgkmcnt(0)
	s_barrier
	ds_read_b32 v6, v10
	v_mov_b32_e32 v7, -1
	v_mov_b32_e32 v8, -1
	s_waitcnt lgkmcnt(0)
	v_add_f32_e32 v5, v5, v6
	ds_write_b32 v10, v5
	s_waitcnt lgkmcnt(0)
	s_barrier
	ds_read_b64 v[5:6], v9
	s_and_saveexec_b64 s[2:3], s[0:1]
; %bb.46:                               ;   in Loop: Header=BB1_3 Depth=1
	ds_read_b64 v[7:8], v9 offset:8
; %bb.47:                               ;   in Loop: Header=BB1_3 Depth=1
	s_or_b64 exec, exec, s[2:3]
	s_waitcnt lgkmcnt(0)
	v_cmp_ne_u64_e32 vcc, v[5:6], v[7:8]
	v_cmp_lt_i64_e64 s[2:3], -1, v[5:6]
	s_and_b64 s[8:9], s[2:3], vcc
	s_and_saveexec_b64 s[2:3], s[8:9]
	s_cbranch_execz .LBB1_2
; %bb.48:                               ;   in Loop: Header=BB1_3 Depth=1
	ds_read_b32 v7, v10
	s_mov_b64 s[8:9], -1
	s_and_b64 vcc, exec, s[40:41]
	s_cbranch_vccz .LBB1_50
; %bb.49:                               ;   in Loop: Header=BB1_3 Depth=1
	v_mul_lo_u32 v8, v6, s14
	v_mul_lo_u32 v31, v5, s15
	v_mad_u64_u32 v[29:30], s[8:9], v5, s14, 0
	s_mov_b64 s[8:9], 0
	v_add3_u32 v30, v30, v31, v8
	v_lshlrev_b64 v[29:30], 2, v[29:30]
	v_mov_b32_e32 v8, s44
	v_add_co_u32_e32 v29, vcc, s33, v29
	v_addc_co_u32_e32 v30, vcc, v8, v30, vcc
	global_load_dword v8, v[29:30], off
	s_waitcnt vmcnt(0) lgkmcnt(0)
	v_add_f32_e32 v8, v7, v8
	global_store_dword v[29:30], v8, off
.LBB1_50:                               ;   in Loop: Header=BB1_3 Depth=1
	s_andn2_b64 vcc, exec, s[8:9]
	s_cbranch_vccnz .LBB1_2
; %bb.51:                               ;   in Loop: Header=BB1_3 Depth=1
	v_lshlrev_b64 v[5:6], 2, v[5:6]
	v_mov_b32_e32 v8, s13
	v_add_co_u32_e32 v5, vcc, s12, v5
	v_addc_co_u32_e32 v6, vcc, v8, v6, vcc
	global_load_dword v8, v[5:6], off
	s_waitcnt vmcnt(0) lgkmcnt(0)
	v_add_f32_e32 v7, v7, v8
	global_store_dword v[5:6], v7, off
	s_branch .LBB1_2
.LBB1_52:
	s_endpgm
	.section	.rodata,"a",@progbits
	.p2align	6, 0x0
	.amdhsa_kernel _ZN9rocsparseL28coommnn_general_block_reduceILj1024EflfEEvT1_S1_PKS1_PKT0_PT2_ll16rocsparse_order_
		.amdhsa_group_segment_fixed_size 12288
		.amdhsa_private_segment_fixed_size 0
		.amdhsa_kernarg_size 60
		.amdhsa_user_sgpr_count 6
		.amdhsa_user_sgpr_private_segment_buffer 1
		.amdhsa_user_sgpr_dispatch_ptr 0
		.amdhsa_user_sgpr_queue_ptr 0
		.amdhsa_user_sgpr_kernarg_segment_ptr 1
		.amdhsa_user_sgpr_dispatch_id 0
		.amdhsa_user_sgpr_flat_scratch_init 0
		.amdhsa_user_sgpr_private_segment_size 0
		.amdhsa_uses_dynamic_stack 0
		.amdhsa_system_sgpr_private_segment_wavefront_offset 0
		.amdhsa_system_sgpr_workgroup_id_x 1
		.amdhsa_system_sgpr_workgroup_id_y 0
		.amdhsa_system_sgpr_workgroup_id_z 1
		.amdhsa_system_sgpr_workgroup_info 0
		.amdhsa_system_vgpr_workitem_id 0
		.amdhsa_next_free_vgpr 33
		.amdhsa_next_free_sgpr 61
		.amdhsa_reserve_vcc 1
		.amdhsa_reserve_flat_scratch 0
		.amdhsa_float_round_mode_32 0
		.amdhsa_float_round_mode_16_64 0
		.amdhsa_float_denorm_mode_32 3
		.amdhsa_float_denorm_mode_16_64 3
		.amdhsa_dx10_clamp 1
		.amdhsa_ieee_mode 1
		.amdhsa_fp16_overflow 0
		.amdhsa_exception_fp_ieee_invalid_op 0
		.amdhsa_exception_fp_denorm_src 0
		.amdhsa_exception_fp_ieee_div_zero 0
		.amdhsa_exception_fp_ieee_overflow 0
		.amdhsa_exception_fp_ieee_underflow 0
		.amdhsa_exception_fp_ieee_inexact 0
		.amdhsa_exception_int_div_zero 0
	.end_amdhsa_kernel
	.section	.text._ZN9rocsparseL28coommnn_general_block_reduceILj1024EflfEEvT1_S1_PKS1_PKT0_PT2_ll16rocsparse_order_,"axG",@progbits,_ZN9rocsparseL28coommnn_general_block_reduceILj1024EflfEEvT1_S1_PKS1_PKT0_PT2_ll16rocsparse_order_,comdat
.Lfunc_end1:
	.size	_ZN9rocsparseL28coommnn_general_block_reduceILj1024EflfEEvT1_S1_PKS1_PKT0_PT2_ll16rocsparse_order_, .Lfunc_end1-_ZN9rocsparseL28coommnn_general_block_reduceILj1024EflfEEvT1_S1_PKS1_PKT0_PT2_ll16rocsparse_order_
                                        ; -- End function
	.set _ZN9rocsparseL28coommnn_general_block_reduceILj1024EflfEEvT1_S1_PKS1_PKT0_PT2_ll16rocsparse_order_.num_vgpr, 33
	.set _ZN9rocsparseL28coommnn_general_block_reduceILj1024EflfEEvT1_S1_PKS1_PKT0_PT2_ll16rocsparse_order_.num_agpr, 0
	.set _ZN9rocsparseL28coommnn_general_block_reduceILj1024EflfEEvT1_S1_PKS1_PKT0_PT2_ll16rocsparse_order_.numbered_sgpr, 50
	.set _ZN9rocsparseL28coommnn_general_block_reduceILj1024EflfEEvT1_S1_PKS1_PKT0_PT2_ll16rocsparse_order_.num_named_barrier, 0
	.set _ZN9rocsparseL28coommnn_general_block_reduceILj1024EflfEEvT1_S1_PKS1_PKT0_PT2_ll16rocsparse_order_.private_seg_size, 0
	.set _ZN9rocsparseL28coommnn_general_block_reduceILj1024EflfEEvT1_S1_PKS1_PKT0_PT2_ll16rocsparse_order_.uses_vcc, 1
	.set _ZN9rocsparseL28coommnn_general_block_reduceILj1024EflfEEvT1_S1_PKS1_PKT0_PT2_ll16rocsparse_order_.uses_flat_scratch, 0
	.set _ZN9rocsparseL28coommnn_general_block_reduceILj1024EflfEEvT1_S1_PKS1_PKT0_PT2_ll16rocsparse_order_.has_dyn_sized_stack, 0
	.set _ZN9rocsparseL28coommnn_general_block_reduceILj1024EflfEEvT1_S1_PKS1_PKT0_PT2_ll16rocsparse_order_.has_recursion, 0
	.set _ZN9rocsparseL28coommnn_general_block_reduceILj1024EflfEEvT1_S1_PKS1_PKT0_PT2_ll16rocsparse_order_.has_indirect_call, 0
	.section	.AMDGPU.csdata,"",@progbits
; Kernel info:
; codeLenInByte = 1940
; TotalNumSgprs: 54
; NumVgprs: 33
; ScratchSize: 0
; MemoryBound: 0
; FloatMode: 240
; IeeeMode: 1
; LDSByteSize: 12288 bytes/workgroup (compile time only)
; SGPRBlocks: 8
; VGPRBlocks: 8
; NumSGPRsForWavesPerEU: 65
; NumVGPRsForWavesPerEU: 33
; Occupancy: 7
; WaveLimiterHint : 0
; COMPUTE_PGM_RSRC2:SCRATCH_EN: 0
; COMPUTE_PGM_RSRC2:USER_SGPR: 6
; COMPUTE_PGM_RSRC2:TRAP_HANDLER: 0
; COMPUTE_PGM_RSRC2:TGID_X_EN: 1
; COMPUTE_PGM_RSRC2:TGID_Y_EN: 0
; COMPUTE_PGM_RSRC2:TGID_Z_EN: 1
; COMPUTE_PGM_RSRC2:TIDIG_COMP_CNT: 0
	.section	.text._ZN9rocsparseL28coommnn_general_block_reduceILj1024EdidEEvT1_S1_PKS1_PKT0_PT2_ll16rocsparse_order_,"axG",@progbits,_ZN9rocsparseL28coommnn_general_block_reduceILj1024EdidEEvT1_S1_PKS1_PKT0_PT2_ll16rocsparse_order_,comdat
	.globl	_ZN9rocsparseL28coommnn_general_block_reduceILj1024EdidEEvT1_S1_PKS1_PKT0_PT2_ll16rocsparse_order_ ; -- Begin function _ZN9rocsparseL28coommnn_general_block_reduceILj1024EdidEEvT1_S1_PKS1_PKT0_PT2_ll16rocsparse_order_
	.p2align	8
	.type	_ZN9rocsparseL28coommnn_general_block_reduceILj1024EdidEEvT1_S1_PKS1_PKT0_PT2_ll16rocsparse_order_,@function
_ZN9rocsparseL28coommnn_general_block_reduceILj1024EdidEEvT1_S1_PKS1_PKT0_PT2_ll16rocsparse_order_: ; @_ZN9rocsparseL28coommnn_general_block_reduceILj1024EdidEEvT1_S1_PKS1_PKT0_PT2_ll16rocsparse_order_
; %bb.0:
	s_load_dwordx2 s[16:17], s[4:5], 0x0
	s_waitcnt lgkmcnt(0)
	s_cmp_lt_i32 s17, 1
	s_cbranch_scc1 .LBB2_52
; %bb.1:
	v_mov_b32_e32 v1, 0x2000
	v_subrev_co_u32_e32 v2, vcc, 1, v0
	s_load_dwordx8 s[8:15], s[4:5], 0x8
	s_load_dwordx2 s[2:3], s[4:5], 0x28
	s_load_dword s33, s[4:5], 0x30
	s_xor_b64 s[4:5], vcc, -1
	v_lshl_add_u32 v9, v2, 2, v1
	v_subrev_co_u32_e32 v2, vcc, 2, v0
	s_xor_b64 s[18:19], vcc, -1
	v_lshl_add_u32 v10, v2, 2, v1
	v_subrev_co_u32_e32 v2, vcc, 4, v0
	;; [unrolled: 3-line block ×3, first 2 shown]
	s_mul_i32 s0, s16, s7
	s_xor_b64 s[22:23], vcc, -1
	v_lshl_add_u32 v12, v2, 2, v1
	v_subrev_co_u32_e32 v2, vcc, 16, v0
	s_add_i32 s0, s0, s6
	s_xor_b64 s[24:25], vcc, -1
	v_lshl_add_u32 v14, v2, 2, v1
	v_subrev_co_u32_e32 v2, vcc, 32, v0
	s_mul_i32 s43, s0, s17
	s_xor_b64 s[26:27], vcc, -1
	v_lshl_add_u32 v16, v2, 2, v1
	v_subrev_co_u32_e32 v2, vcc, 64, v0
	s_movk_i32 s0, 0x80
	s_xor_b64 s[28:29], vcc, -1
	v_lshl_add_u32 v18, v2, 2, v1
	v_subrev_co_u32_e32 v2, vcc, s0, v0
	s_movk_i32 s0, 0x100
	;; [unrolled: 4-line block ×3, first 2 shown]
	s_xor_b64 s[34:35], vcc, -1
	v_lshl_add_u32 v22, v2, 2, v1
	v_subrev_co_u32_e32 v2, vcc, s0, v0
	s_xor_b64 s[36:37], vcc, -1
	s_waitcnt lgkmcnt(0)
	s_cmp_lg_u32 s33, 1
	s_mov_b32 s16, s7
	s_cselect_b64 s[38:39], -1, 0
	s_ashr_i32 s33, s16, 31
	s_mul_hi_u32 s40, s2, s16
	s_mul_i32 s33, s2, s33
	s_mul_i32 s42, s17, s7
	s_ashr_i32 s7, s6, 31
	s_add_i32 s33, s40, s33
	s_mul_i32 s3, s3, s16
	s_add_i32 s3, s33, s3
	s_lshl_b64 s[40:41], s[6:7], 3
	s_mul_i32 s2, s2, s16
	s_add_u32 s16, s12, s40
	s_addc_u32 s33, s13, s41
	s_lshl_b64 s[2:3], s[2:3], 3
	s_add_u32 s16, s16, s2
	s_mul_hi_u32 s40, s14, s6
	s_mul_i32 s7, s14, s7
	s_addc_u32 s33, s33, s3
	s_add_i32 s7, s40, s7
	s_mul_i32 s40, s15, s6
	s_add_i32 s7, s7, s40
	s_mul_i32 s6, s14, s6
	s_lshl_b64 s[6:7], s[6:7], 3
	s_add_u32 s6, s12, s6
	s_addc_u32 s7, s13, s7
	v_lshlrev_b32_e32 v8, 3, v0
	s_movk_i32 s0, 0x3ff
	s_add_u32 s12, s6, s2
	v_lshl_or_b32 v7, v0, 2, v1
	v_subrev_u32_e32 v13, 64, v8
	v_add_u32_e32 v15, 0xffffff80, v8
	v_add_u32_e32 v17, 0xffffff00, v8
	;; [unrolled: 1-line block ×5, first 2 shown]
	v_lshl_add_u32 v24, v2, 2, v1
	v_add_u32_e32 v25, 0xfffff000, v8
	v_cmp_ne_u32_e64 s[0:1], s0, v0
	s_addc_u32 s13, s7, s3
	v_add_u32_e32 v26, s42, v0
	v_add_u32_e32 v27, s43, v0
	s_mov_b32 s40, 0
	v_mov_b32_e32 v2, 0
	s_branch .LBB2_3
.LBB2_2:                                ;   in Loop: Header=BB2_3 Depth=1
	s_or_b64 exec, exec, s[2:3]
	s_addk_i32 s40, 0x400
	s_cmp_ge_i32 s40, s17
	s_waitcnt vmcnt(0) lgkmcnt(0)
	s_barrier
	s_cbranch_scc1 .LBB2_52
.LBB2_3:                                ; =>This Inner Loop Header: Depth=1
	v_add_u32_e32 v1, s40, v0
	v_mov_b32_e32 v3, 0
	v_mov_b32_e32 v5, 0
	v_cmp_gt_i32_e32 vcc, s17, v1
	v_mov_b32_e32 v4, 0
	v_mov_b32_e32 v6, 0
	v_mov_b32_e32 v1, -1
	s_and_saveexec_b64 s[2:3], vcc
	s_cbranch_execz .LBB2_5
; %bb.4:                                ;   in Loop: Header=BB2_3 Depth=1
	v_add_u32_e32 v5, s40, v26
	v_ashrrev_i32_e32 v6, 31, v5
	v_lshlrev_b64 v[5:6], 2, v[5:6]
	v_mov_b32_e32 v1, s9
	v_add_co_u32_e32 v5, vcc, s8, v5
	v_addc_co_u32_e32 v6, vcc, v1, v6, vcc
	global_load_dword v1, v[5:6], off
	v_add_u32_e32 v5, s40, v27
	v_ashrrev_i32_e32 v6, 31, v5
	v_lshlrev_b64 v[5:6], 3, v[5:6]
	v_mov_b32_e32 v28, s11
	v_add_co_u32_e32 v5, vcc, s10, v5
	v_addc_co_u32_e32 v6, vcc, v28, v6, vcc
	global_load_dwordx2 v[5:6], v[5:6], off
.LBB2_5:                                ;   in Loop: Header=BB2_3 Depth=1
	s_or_b64 exec, exec, s[2:3]
	s_waitcnt vmcnt(1)
	ds_write_b32 v7, v1
	s_waitcnt vmcnt(0)
	ds_write_b64 v8, v[5:6]
	s_waitcnt lgkmcnt(0)
	s_barrier
	s_and_saveexec_b64 s[2:3], s[4:5]
	s_cbranch_execz .LBB2_9
; %bb.6:                                ;   in Loop: Header=BB2_3 Depth=1
	ds_read2_b32 v[5:6], v9 offset1:1
	v_mov_b32_e32 v3, 0
	v_mov_b32_e32 v4, 0
	s_waitcnt lgkmcnt(0)
	v_cmp_eq_u32_e32 vcc, v6, v5
	s_and_saveexec_b64 s[6:7], vcc
; %bb.7:                                ;   in Loop: Header=BB2_3 Depth=1
	v_add_u32_e32 v1, -8, v8
	ds_read_b64 v[3:4], v1
; %bb.8:                                ;   in Loop: Header=BB2_3 Depth=1
	s_or_b64 exec, exec, s[6:7]
.LBB2_9:                                ;   in Loop: Header=BB2_3 Depth=1
	s_or_b64 exec, exec, s[2:3]
	s_waitcnt lgkmcnt(0)
	s_barrier
	ds_read_b64 v[5:6], v8
	s_waitcnt lgkmcnt(0)
	v_add_f64 v[28:29], v[3:4], v[5:6]
	v_mov_b32_e32 v3, 0
	v_mov_b32_e32 v5, 0
	;; [unrolled: 1-line block ×4, first 2 shown]
	ds_write_b64 v8, v[28:29]
	s_waitcnt lgkmcnt(0)
	s_barrier
	s_and_saveexec_b64 s[2:3], s[18:19]
	s_cbranch_execz .LBB2_13
; %bb.10:                               ;   in Loop: Header=BB2_3 Depth=1
	ds_read_b32 v1, v7
	ds_read_b32 v28, v10
	v_mov_b32_e32 v5, 0
	v_mov_b32_e32 v6, 0
	s_waitcnt lgkmcnt(0)
	v_cmp_eq_u32_e32 vcc, v1, v28
	s_and_saveexec_b64 s[6:7], vcc
; %bb.11:                               ;   in Loop: Header=BB2_3 Depth=1
	v_add_u32_e32 v1, -16, v8
	ds_read_b64 v[5:6], v1
; %bb.12:                               ;   in Loop: Header=BB2_3 Depth=1
	s_or_b64 exec, exec, s[6:7]
.LBB2_13:                               ;   in Loop: Header=BB2_3 Depth=1
	s_or_b64 exec, exec, s[2:3]
	s_waitcnt lgkmcnt(0)
	s_barrier
	ds_read_b64 v[28:29], v8
	s_waitcnt lgkmcnt(0)
	v_add_f64 v[5:6], v[5:6], v[28:29]
	ds_write_b64 v8, v[5:6]
	s_waitcnt lgkmcnt(0)
	s_barrier
	s_and_saveexec_b64 s[2:3], s[20:21]
	s_cbranch_execz .LBB2_17
; %bb.14:                               ;   in Loop: Header=BB2_3 Depth=1
	ds_read_b32 v1, v7
	ds_read_b32 v5, v11
	v_mov_b32_e32 v3, 0
	v_mov_b32_e32 v4, 0
	s_waitcnt lgkmcnt(0)
	v_cmp_eq_u32_e32 vcc, v1, v5
	s_and_saveexec_b64 s[6:7], vcc
; %bb.15:                               ;   in Loop: Header=BB2_3 Depth=1
	v_subrev_u32_e32 v1, 32, v8
	ds_read_b64 v[3:4], v1
; %bb.16:                               ;   in Loop: Header=BB2_3 Depth=1
	s_or_b64 exec, exec, s[6:7]
.LBB2_17:                               ;   in Loop: Header=BB2_3 Depth=1
	s_or_b64 exec, exec, s[2:3]
	s_waitcnt lgkmcnt(0)
	s_barrier
	ds_read_b64 v[5:6], v8
	s_waitcnt lgkmcnt(0)
	v_add_f64 v[28:29], v[3:4], v[5:6]
	v_mov_b32_e32 v3, 0
	v_mov_b32_e32 v5, 0
	v_mov_b32_e32 v4, 0
	v_mov_b32_e32 v6, 0
	ds_write_b64 v8, v[28:29]
	s_waitcnt lgkmcnt(0)
	s_barrier
	s_and_saveexec_b64 s[2:3], s[22:23]
	s_cbranch_execz .LBB2_21
; %bb.18:                               ;   in Loop: Header=BB2_3 Depth=1
	ds_read_b32 v1, v7
	ds_read_b32 v28, v12
	v_mov_b32_e32 v5, 0
	v_mov_b32_e32 v6, 0
	s_waitcnt lgkmcnt(0)
	v_cmp_eq_u32_e32 vcc, v1, v28
	s_and_saveexec_b64 s[6:7], vcc
; %bb.19:                               ;   in Loop: Header=BB2_3 Depth=1
	ds_read_b64 v[5:6], v13
; %bb.20:                               ;   in Loop: Header=BB2_3 Depth=1
	s_or_b64 exec, exec, s[6:7]
.LBB2_21:                               ;   in Loop: Header=BB2_3 Depth=1
	s_or_b64 exec, exec, s[2:3]
	s_waitcnt lgkmcnt(0)
	s_barrier
	ds_read_b64 v[28:29], v8
	s_waitcnt lgkmcnt(0)
	v_add_f64 v[5:6], v[5:6], v[28:29]
	ds_write_b64 v8, v[5:6]
	s_waitcnt lgkmcnt(0)
	s_barrier
	s_and_saveexec_b64 s[2:3], s[24:25]
	s_cbranch_execz .LBB2_25
; %bb.22:                               ;   in Loop: Header=BB2_3 Depth=1
	ds_read_b32 v1, v7
	ds_read_b32 v5, v14
	v_mov_b32_e32 v3, 0
	v_mov_b32_e32 v4, 0
	s_waitcnt lgkmcnt(0)
	v_cmp_eq_u32_e32 vcc, v1, v5
	s_and_saveexec_b64 s[6:7], vcc
; %bb.23:                               ;   in Loop: Header=BB2_3 Depth=1
	ds_read_b64 v[3:4], v15
; %bb.24:                               ;   in Loop: Header=BB2_3 Depth=1
	s_or_b64 exec, exec, s[6:7]
.LBB2_25:                               ;   in Loop: Header=BB2_3 Depth=1
	s_or_b64 exec, exec, s[2:3]
	s_waitcnt lgkmcnt(0)
	s_barrier
	ds_read_b64 v[5:6], v8
	s_waitcnt lgkmcnt(0)
	v_add_f64 v[28:29], v[3:4], v[5:6]
	v_mov_b32_e32 v3, 0
	v_mov_b32_e32 v5, 0
	v_mov_b32_e32 v4, 0
	v_mov_b32_e32 v6, 0
	ds_write_b64 v8, v[28:29]
	s_waitcnt lgkmcnt(0)
	s_barrier
	s_and_saveexec_b64 s[2:3], s[26:27]
	s_cbranch_execz .LBB2_29
; %bb.26:                               ;   in Loop: Header=BB2_3 Depth=1
	ds_read_b32 v1, v7
	ds_read_b32 v28, v16
	v_mov_b32_e32 v5, 0
	v_mov_b32_e32 v6, 0
	s_waitcnt lgkmcnt(0)
	v_cmp_eq_u32_e32 vcc, v1, v28
	s_and_saveexec_b64 s[6:7], vcc
; %bb.27:                               ;   in Loop: Header=BB2_3 Depth=1
	ds_read_b64 v[5:6], v17
; %bb.28:                               ;   in Loop: Header=BB2_3 Depth=1
	s_or_b64 exec, exec, s[6:7]
.LBB2_29:                               ;   in Loop: Header=BB2_3 Depth=1
	s_or_b64 exec, exec, s[2:3]
	s_waitcnt lgkmcnt(0)
	s_barrier
	ds_read_b64 v[28:29], v8
	s_waitcnt lgkmcnt(0)
	v_add_f64 v[5:6], v[5:6], v[28:29]
	ds_write_b64 v8, v[5:6]
	s_waitcnt lgkmcnt(0)
	s_barrier
	s_and_saveexec_b64 s[2:3], s[28:29]
	s_cbranch_execz .LBB2_33
; %bb.30:                               ;   in Loop: Header=BB2_3 Depth=1
	ds_read_b32 v1, v7
	ds_read_b32 v5, v18
	v_mov_b32_e32 v3, 0
	v_mov_b32_e32 v4, 0
	s_waitcnt lgkmcnt(0)
	v_cmp_eq_u32_e32 vcc, v1, v5
	s_and_saveexec_b64 s[6:7], vcc
; %bb.31:                               ;   in Loop: Header=BB2_3 Depth=1
	ds_read_b64 v[3:4], v19
; %bb.32:                               ;   in Loop: Header=BB2_3 Depth=1
	s_or_b64 exec, exec, s[6:7]
.LBB2_33:                               ;   in Loop: Header=BB2_3 Depth=1
	;; [unrolled: 52-line block ×3, first 2 shown]
	s_or_b64 exec, exec, s[2:3]
	s_waitcnt lgkmcnt(0)
	s_barrier
	ds_read_b64 v[5:6], v8
	s_waitcnt lgkmcnt(0)
	v_add_f64 v[5:6], v[3:4], v[5:6]
	v_mov_b32_e32 v3, 0
	v_mov_b32_e32 v4, 0
	ds_write_b64 v8, v[5:6]
	s_waitcnt lgkmcnt(0)
	s_barrier
	s_and_saveexec_b64 s[2:3], s[36:37]
	s_cbranch_execz .LBB2_45
; %bb.42:                               ;   in Loop: Header=BB2_3 Depth=1
	ds_read_b32 v1, v7
	ds_read_b32 v5, v24
	v_mov_b32_e32 v3, 0
	v_mov_b32_e32 v4, 0
	s_waitcnt lgkmcnt(0)
	v_cmp_eq_u32_e32 vcc, v1, v5
	s_and_saveexec_b64 s[6:7], vcc
; %bb.43:                               ;   in Loop: Header=BB2_3 Depth=1
	ds_read_b64 v[3:4], v25
; %bb.44:                               ;   in Loop: Header=BB2_3 Depth=1
	s_or_b64 exec, exec, s[6:7]
.LBB2_45:                               ;   in Loop: Header=BB2_3 Depth=1
	s_or_b64 exec, exec, s[2:3]
	s_waitcnt lgkmcnt(0)
	s_barrier
	ds_read_b64 v[5:6], v8
	s_waitcnt lgkmcnt(0)
	v_add_f64 v[3:4], v[3:4], v[5:6]
	ds_write_b64 v8, v[3:4]
	s_waitcnt lgkmcnt(0)
	s_barrier
	ds_read_b32 v1, v7
	v_mov_b32_e32 v3, -1
	s_and_saveexec_b64 s[2:3], s[0:1]
; %bb.46:                               ;   in Loop: Header=BB2_3 Depth=1
	ds_read_b32 v3, v7 offset:4
; %bb.47:                               ;   in Loop: Header=BB2_3 Depth=1
	s_or_b64 exec, exec, s[2:3]
	s_waitcnt lgkmcnt(0)
	v_cmp_ne_u32_e32 vcc, v1, v3
	v_cmp_lt_i32_e64 s[2:3], -1, v1
	s_and_b64 s[6:7], s[2:3], vcc
	s_and_saveexec_b64 s[2:3], s[6:7]
	s_cbranch_execz .LBB2_2
; %bb.48:                               ;   in Loop: Header=BB2_3 Depth=1
	ds_read_b64 v[3:4], v8
	s_mov_b64 s[6:7], -1
	s_and_b64 vcc, exec, s[38:39]
	s_cbranch_vccz .LBB2_50
; %bb.49:                               ;   in Loop: Header=BB2_3 Depth=1
	v_mad_u64_u32 v[5:6], s[6:7], s14, v1, 0
	v_mad_u64_u32 v[28:29], s[6:7], s15, v1, v[6:7]
	v_mov_b32_e32 v29, s33
	s_mov_b64 s[6:7], 0
	v_mov_b32_e32 v6, v28
	v_lshlrev_b64 v[5:6], 3, v[5:6]
	v_add_co_u32_e32 v5, vcc, s16, v5
	v_addc_co_u32_e32 v6, vcc, v29, v6, vcc
	global_load_dwordx2 v[28:29], v[5:6], off
	s_waitcnt vmcnt(0) lgkmcnt(0)
	v_add_f64 v[28:29], v[3:4], v[28:29]
	global_store_dwordx2 v[5:6], v[28:29], off
.LBB2_50:                               ;   in Loop: Header=BB2_3 Depth=1
	s_andn2_b64 vcc, exec, s[6:7]
	s_cbranch_vccnz .LBB2_2
; %bb.51:                               ;   in Loop: Header=BB2_3 Depth=1
	v_lshlrev_b64 v[5:6], 3, v[1:2]
	v_mov_b32_e32 v1, s13
	v_add_co_u32_e32 v5, vcc, s12, v5
	v_addc_co_u32_e32 v6, vcc, v1, v6, vcc
	global_load_dwordx2 v[28:29], v[5:6], off
	s_waitcnt vmcnt(0) lgkmcnt(0)
	v_add_f64 v[3:4], v[3:4], v[28:29]
	global_store_dwordx2 v[5:6], v[3:4], off
	s_branch .LBB2_2
.LBB2_52:
	s_endpgm
	.section	.rodata,"a",@progbits
	.p2align	6, 0x0
	.amdhsa_kernel _ZN9rocsparseL28coommnn_general_block_reduceILj1024EdidEEvT1_S1_PKS1_PKT0_PT2_ll16rocsparse_order_
		.amdhsa_group_segment_fixed_size 12288
		.amdhsa_private_segment_fixed_size 0
		.amdhsa_kernarg_size 52
		.amdhsa_user_sgpr_count 6
		.amdhsa_user_sgpr_private_segment_buffer 1
		.amdhsa_user_sgpr_dispatch_ptr 0
		.amdhsa_user_sgpr_queue_ptr 0
		.amdhsa_user_sgpr_kernarg_segment_ptr 1
		.amdhsa_user_sgpr_dispatch_id 0
		.amdhsa_user_sgpr_flat_scratch_init 0
		.amdhsa_user_sgpr_private_segment_size 0
		.amdhsa_uses_dynamic_stack 0
		.amdhsa_system_sgpr_private_segment_wavefront_offset 0
		.amdhsa_system_sgpr_workgroup_id_x 1
		.amdhsa_system_sgpr_workgroup_id_y 0
		.amdhsa_system_sgpr_workgroup_id_z 1
		.amdhsa_system_sgpr_workgroup_info 0
		.amdhsa_system_vgpr_workitem_id 0
		.amdhsa_next_free_vgpr 30
		.amdhsa_next_free_sgpr 61
		.amdhsa_reserve_vcc 1
		.amdhsa_reserve_flat_scratch 0
		.amdhsa_float_round_mode_32 0
		.amdhsa_float_round_mode_16_64 0
		.amdhsa_float_denorm_mode_32 3
		.amdhsa_float_denorm_mode_16_64 3
		.amdhsa_dx10_clamp 1
		.amdhsa_ieee_mode 1
		.amdhsa_fp16_overflow 0
		.amdhsa_exception_fp_ieee_invalid_op 0
		.amdhsa_exception_fp_denorm_src 0
		.amdhsa_exception_fp_ieee_div_zero 0
		.amdhsa_exception_fp_ieee_overflow 0
		.amdhsa_exception_fp_ieee_underflow 0
		.amdhsa_exception_fp_ieee_inexact 0
		.amdhsa_exception_int_div_zero 0
	.end_amdhsa_kernel
	.section	.text._ZN9rocsparseL28coommnn_general_block_reduceILj1024EdidEEvT1_S1_PKS1_PKT0_PT2_ll16rocsparse_order_,"axG",@progbits,_ZN9rocsparseL28coommnn_general_block_reduceILj1024EdidEEvT1_S1_PKS1_PKT0_PT2_ll16rocsparse_order_,comdat
.Lfunc_end2:
	.size	_ZN9rocsparseL28coommnn_general_block_reduceILj1024EdidEEvT1_S1_PKS1_PKT0_PT2_ll16rocsparse_order_, .Lfunc_end2-_ZN9rocsparseL28coommnn_general_block_reduceILj1024EdidEEvT1_S1_PKS1_PKT0_PT2_ll16rocsparse_order_
                                        ; -- End function
	.set _ZN9rocsparseL28coommnn_general_block_reduceILj1024EdidEEvT1_S1_PKS1_PKT0_PT2_ll16rocsparse_order_.num_vgpr, 30
	.set _ZN9rocsparseL28coommnn_general_block_reduceILj1024EdidEEvT1_S1_PKS1_PKT0_PT2_ll16rocsparse_order_.num_agpr, 0
	.set _ZN9rocsparseL28coommnn_general_block_reduceILj1024EdidEEvT1_S1_PKS1_PKT0_PT2_ll16rocsparse_order_.numbered_sgpr, 44
	.set _ZN9rocsparseL28coommnn_general_block_reduceILj1024EdidEEvT1_S1_PKS1_PKT0_PT2_ll16rocsparse_order_.num_named_barrier, 0
	.set _ZN9rocsparseL28coommnn_general_block_reduceILj1024EdidEEvT1_S1_PKS1_PKT0_PT2_ll16rocsparse_order_.private_seg_size, 0
	.set _ZN9rocsparseL28coommnn_general_block_reduceILj1024EdidEEvT1_S1_PKS1_PKT0_PT2_ll16rocsparse_order_.uses_vcc, 1
	.set _ZN9rocsparseL28coommnn_general_block_reduceILj1024EdidEEvT1_S1_PKS1_PKT0_PT2_ll16rocsparse_order_.uses_flat_scratch, 0
	.set _ZN9rocsparseL28coommnn_general_block_reduceILj1024EdidEEvT1_S1_PKS1_PKT0_PT2_ll16rocsparse_order_.has_dyn_sized_stack, 0
	.set _ZN9rocsparseL28coommnn_general_block_reduceILj1024EdidEEvT1_S1_PKS1_PKT0_PT2_ll16rocsparse_order_.has_recursion, 0
	.set _ZN9rocsparseL28coommnn_general_block_reduceILj1024EdidEEvT1_S1_PKS1_PKT0_PT2_ll16rocsparse_order_.has_indirect_call, 0
	.section	.AMDGPU.csdata,"",@progbits
; Kernel info:
; codeLenInByte = 1948
; TotalNumSgprs: 48
; NumVgprs: 30
; ScratchSize: 0
; MemoryBound: 0
; FloatMode: 240
; IeeeMode: 1
; LDSByteSize: 12288 bytes/workgroup (compile time only)
; SGPRBlocks: 8
; VGPRBlocks: 7
; NumSGPRsForWavesPerEU: 65
; NumVGPRsForWavesPerEU: 30
; Occupancy: 8
; WaveLimiterHint : 0
; COMPUTE_PGM_RSRC2:SCRATCH_EN: 0
; COMPUTE_PGM_RSRC2:USER_SGPR: 6
; COMPUTE_PGM_RSRC2:TRAP_HANDLER: 0
; COMPUTE_PGM_RSRC2:TGID_X_EN: 1
; COMPUTE_PGM_RSRC2:TGID_Y_EN: 0
; COMPUTE_PGM_RSRC2:TGID_Z_EN: 1
; COMPUTE_PGM_RSRC2:TIDIG_COMP_CNT: 0
	.section	.text._ZN9rocsparseL28coommnn_general_block_reduceILj1024EdldEEvT1_S1_PKS1_PKT0_PT2_ll16rocsparse_order_,"axG",@progbits,_ZN9rocsparseL28coommnn_general_block_reduceILj1024EdldEEvT1_S1_PKS1_PKT0_PT2_ll16rocsparse_order_,comdat
	.globl	_ZN9rocsparseL28coommnn_general_block_reduceILj1024EdldEEvT1_S1_PKS1_PKT0_PT2_ll16rocsparse_order_ ; -- Begin function _ZN9rocsparseL28coommnn_general_block_reduceILj1024EdldEEvT1_S1_PKS1_PKT0_PT2_ll16rocsparse_order_
	.p2align	8
	.type	_ZN9rocsparseL28coommnn_general_block_reduceILj1024EdldEEvT1_S1_PKS1_PKT0_PT2_ll16rocsparse_order_,@function
_ZN9rocsparseL28coommnn_general_block_reduceILj1024EdldEEvT1_S1_PKS1_PKT0_PT2_ll16rocsparse_order_: ; @_ZN9rocsparseL28coommnn_general_block_reduceILj1024EdldEEvT1_S1_PKS1_PKT0_PT2_ll16rocsparse_order_
; %bb.0:
	s_load_dwordx4 s[16:19], s[4:5], 0x0
	s_waitcnt lgkmcnt(0)
	v_cmp_lt_i64_e64 s[0:1], s[18:19], 1
	s_and_b64 vcc, exec, s[0:1]
	s_cbranch_vccnz .LBB3_52
; %bb.1:
	s_load_dwordx8 s[8:15], s[4:5], 0x10
	s_load_dwordx2 s[44:45], s[4:5], 0x30
	s_load_dword s3, s[4:5], 0x38
	s_mov_b32 s2, s7
	s_mov_b32 s7, 0
	s_lshl_b64 s[42:43], s[6:7], 3
	s_waitcnt lgkmcnt(0)
	s_add_u32 s7, s12, s42
	v_subrev_co_u32_e32 v1, vcc, 1, v0
	v_mov_b32_e32 v2, 0x2000
	s_addc_u32 s48, s13, s43
	s_xor_b64 s[4:5], vcc, -1
	v_lshl_add_u32 v13, v1, 3, v2
	v_subrev_co_u32_e32 v1, vcc, 2, v0
	s_xor_b64 s[20:21], vcc, -1
	v_lshl_add_u32 v15, v1, 3, v2
	v_subrev_co_u32_e32 v1, vcc, 4, v0
	;; [unrolled: 3-line block ×6, first 2 shown]
	s_movk_i32 s0, 0x80
	s_xor_b64 s[30:31], vcc, -1
	v_lshl_add_u32 v25, v1, 3, v2
	v_subrev_co_u32_e32 v1, vcc, s0, v0
	s_movk_i32 s0, 0x100
	s_xor_b64 s[34:35], vcc, -1
	v_lshl_add_u32 v27, v1, 3, v2
	v_subrev_co_u32_e32 v1, vcc, s0, v0
	;; [unrolled: 4-line block ×3, first 2 shown]
	s_ashr_i32 s49, s2, 31
	s_xor_b64 s[38:39], vcc, -1
	s_cmp_lg_u32 s3, 1
	s_mul_hi_u32 s3, s44, s2
	s_mul_i32 s33, s44, s49
	s_cselect_b64 s[40:41], -1, 0
	s_add_i32 s3, s3, s33
	s_mul_i32 s33, s45, s2
	s_add_i32 s45, s3, s33
	s_mul_i32 s44, s44, s2
	s_lshl_b64 s[46:47], s[44:45], 3
	s_add_u32 s33, s7, s46
	s_mul_i32 s3, s15, s6
	s_mul_hi_u32 s7, s14, s6
	s_addc_u32 s44, s48, s47
	s_add_i32 s7, s7, s3
	s_mul_i32 s6, s14, s6
	s_lshl_b64 s[6:7], s[6:7], 3
	s_add_u32 s3, s12, s6
	s_addc_u32 s6, s13, s7
	s_add_u32 s12, s3, s46
	s_addc_u32 s13, s6, s47
	s_mul_hi_u32 s3, s18, s2
	s_mul_i32 s6, s18, s49
	s_add_i32 s3, s3, s6
	s_mul_i32 s6, s19, s2
	s_add_i32 s7, s3, s6
	s_mul_i32 s6, s18, s2
	s_lshl_b64 s[6:7], s[6:7], 3
	s_add_u32 s3, s8, s6
	v_lshlrev_b32_e32 v11, 3, v0
	s_addc_u32 s6, s9, s7
	v_lshl_add_u32 v31, v1, 3, v2
	v_mov_b32_e32 v2, s6
	v_add_co_u32_e32 v1, vcc, s3, v11
	s_mul_hi_u32 s3, s16, s2
	s_mul_i32 s6, s16, s49
	s_add_i32 s3, s3, s6
	s_mul_i32 s6, s17, s2
	s_add_i32 s3, s3, s6
	s_mul_i32 s2, s16, s2
	s_lshl_b64 s[2:3], s[2:3], 3
	s_add_u32 s2, s2, s42
	s_addc_u32 s3, s3, s43
	s_mul_i32 s3, s18, s3
	s_mul_hi_u32 s6, s18, s2
	s_add_i32 s3, s6, s3
	s_mul_i32 s6, s19, s2
	s_add_i32 s3, s3, s6
	s_mul_i32 s2, s18, s2
	s_add_u32 s2, s10, s2
	v_addc_co_u32_e32 v2, vcc, 0, v2, vcc
	s_addc_u32 s3, s11, s3
	s_movk_i32 s0, 0x3ff
	v_mov_b32_e32 v4, s3
	v_add_co_u32_e32 v3, vcc, s2, v11
	v_or_b32_e32 v12, 0x2000, v11
	v_add_u32_e32 v14, -16, v11
	v_subrev_u32_e32 v16, 32, v11
	v_subrev_u32_e32 v18, 64, v11
	v_add_u32_e32 v20, 0xffffff80, v11
	v_add_u32_e32 v22, 0xffffff00, v11
	;; [unrolled: 1-line block ×6, first 2 shown]
	v_cmp_ne_u32_e64 s[0:1], s0, v0
	v_addc_co_u32_e32 v4, vcc, 0, v4, vcc
	s_mov_b64 s[6:7], 0
	s_branch .LBB3_3
.LBB3_2:                                ;   in Loop: Header=BB3_3 Depth=1
	s_or_b64 exec, exec, s[2:3]
	s_add_u32 s6, s6, 0x400
	v_add_co_u32_e32 v1, vcc, 0x2000, v1
	v_mov_b32_e32 v5, s18
	s_addc_u32 s7, s7, 0
	v_addc_co_u32_e32 v2, vcc, 0, v2, vcc
	v_mov_b32_e32 v6, s19
	v_add_co_u32_e32 v3, vcc, 0x2000, v3
	v_cmp_ge_i64_e64 s[2:3], s[6:7], v[5:6]
	v_addc_co_u32_e32 v4, vcc, 0, v4, vcc
	s_and_b64 vcc, exec, s[2:3]
	s_waitcnt vmcnt(0) lgkmcnt(0)
	s_barrier
	s_cbranch_vccnz .LBB3_52
.LBB3_3:                                ; =>This Inner Loop Header: Depth=1
	v_mov_b32_e32 v6, s7
	v_add_co_u32_e32 v5, vcc, s6, v0
	v_addc_co_u32_e32 v6, vcc, 0, v6, vcc
	v_cmp_gt_i64_e32 vcc, s[18:19], v[5:6]
	v_mov_b32_e32 v5, 0
	v_mov_b32_e32 v7, -1
	v_mov_b32_e32 v9, 0
	v_mov_b32_e32 v6, 0
	v_mov_b32_e32 v8, -1
	v_mov_b32_e32 v10, 0
	s_and_saveexec_b64 s[2:3], vcc
	s_cbranch_execz .LBB3_5
; %bb.4:                                ;   in Loop: Header=BB3_3 Depth=1
	global_load_dwordx2 v[7:8], v[1:2], off
	global_load_dwordx2 v[9:10], v[3:4], off
.LBB3_5:                                ;   in Loop: Header=BB3_3 Depth=1
	s_or_b64 exec, exec, s[2:3]
	s_waitcnt vmcnt(1)
	ds_write_b64 v11, v[7:8]
	s_waitcnt vmcnt(0)
	ds_write_b64 v12, v[9:10]
	s_waitcnt lgkmcnt(0)
	s_barrier
	s_and_saveexec_b64 s[2:3], s[4:5]
	s_cbranch_execz .LBB3_9
; %bb.6:                                ;   in Loop: Header=BB3_3 Depth=1
	v_add_u32_e32 v5, -8, v11
	ds_read2_b64 v[5:8], v5 offset1:1
	s_waitcnt lgkmcnt(0)
	v_cmp_eq_u64_e32 vcc, v[7:8], v[5:6]
	v_mov_b32_e32 v5, 0
	v_mov_b32_e32 v6, 0
	s_and_saveexec_b64 s[8:9], vcc
; %bb.7:                                ;   in Loop: Header=BB3_3 Depth=1
	ds_read_b64 v[5:6], v13
; %bb.8:                                ;   in Loop: Header=BB3_3 Depth=1
	s_or_b64 exec, exec, s[8:9]
.LBB3_9:                                ;   in Loop: Header=BB3_3 Depth=1
	s_or_b64 exec, exec, s[2:3]
	s_waitcnt lgkmcnt(0)
	s_barrier
	ds_read_b64 v[7:8], v12
	s_waitcnt lgkmcnt(0)
	v_add_f64 v[9:10], v[5:6], v[7:8]
	v_mov_b32_e32 v5, 0
	v_mov_b32_e32 v7, 0
	v_mov_b32_e32 v6, 0
	v_mov_b32_e32 v8, 0
	ds_write_b64 v12, v[9:10]
	s_waitcnt lgkmcnt(0)
	s_barrier
	s_and_saveexec_b64 s[2:3], s[20:21]
	s_cbranch_execz .LBB3_13
; %bb.10:                               ;   in Loop: Header=BB3_3 Depth=1
	ds_read_b64 v[7:8], v11
	ds_read_b64 v[9:10], v14
	s_waitcnt lgkmcnt(0)
	v_cmp_eq_u64_e32 vcc, v[7:8], v[9:10]
	v_mov_b32_e32 v7, 0
	v_mov_b32_e32 v8, 0
	s_and_saveexec_b64 s[8:9], vcc
; %bb.11:                               ;   in Loop: Header=BB3_3 Depth=1
	ds_read_b64 v[7:8], v15
; %bb.12:                               ;   in Loop: Header=BB3_3 Depth=1
	s_or_b64 exec, exec, s[8:9]
.LBB3_13:                               ;   in Loop: Header=BB3_3 Depth=1
	s_or_b64 exec, exec, s[2:3]
	s_waitcnt lgkmcnt(0)
	s_barrier
	ds_read_b64 v[9:10], v12
	s_waitcnt lgkmcnt(0)
	v_add_f64 v[7:8], v[7:8], v[9:10]
	ds_write_b64 v12, v[7:8]
	s_waitcnt lgkmcnt(0)
	s_barrier
	s_and_saveexec_b64 s[2:3], s[22:23]
	s_cbranch_execz .LBB3_17
; %bb.14:                               ;   in Loop: Header=BB3_3 Depth=1
	ds_read_b64 v[5:6], v11
	ds_read_b64 v[7:8], v16
	s_waitcnt lgkmcnt(0)
	v_cmp_eq_u64_e32 vcc, v[5:6], v[7:8]
	v_mov_b32_e32 v5, 0
	v_mov_b32_e32 v6, 0
	s_and_saveexec_b64 s[8:9], vcc
; %bb.15:                               ;   in Loop: Header=BB3_3 Depth=1
	ds_read_b64 v[5:6], v17
; %bb.16:                               ;   in Loop: Header=BB3_3 Depth=1
	s_or_b64 exec, exec, s[8:9]
.LBB3_17:                               ;   in Loop: Header=BB3_3 Depth=1
	s_or_b64 exec, exec, s[2:3]
	s_waitcnt lgkmcnt(0)
	s_barrier
	ds_read_b64 v[7:8], v12
	s_waitcnt lgkmcnt(0)
	v_add_f64 v[9:10], v[5:6], v[7:8]
	v_mov_b32_e32 v5, 0
	v_mov_b32_e32 v7, 0
	v_mov_b32_e32 v6, 0
	v_mov_b32_e32 v8, 0
	ds_write_b64 v12, v[9:10]
	s_waitcnt lgkmcnt(0)
	s_barrier
	s_and_saveexec_b64 s[2:3], s[24:25]
	s_cbranch_execz .LBB3_21
; %bb.18:                               ;   in Loop: Header=BB3_3 Depth=1
	ds_read_b64 v[7:8], v11
	ds_read_b64 v[9:10], v18
	s_waitcnt lgkmcnt(0)
	v_cmp_eq_u64_e32 vcc, v[7:8], v[9:10]
	v_mov_b32_e32 v7, 0
	v_mov_b32_e32 v8, 0
	s_and_saveexec_b64 s[8:9], vcc
; %bb.19:                               ;   in Loop: Header=BB3_3 Depth=1
	ds_read_b64 v[7:8], v19
; %bb.20:                               ;   in Loop: Header=BB3_3 Depth=1
	s_or_b64 exec, exec, s[8:9]
.LBB3_21:                               ;   in Loop: Header=BB3_3 Depth=1
	s_or_b64 exec, exec, s[2:3]
	s_waitcnt lgkmcnt(0)
	s_barrier
	ds_read_b64 v[9:10], v12
	s_waitcnt lgkmcnt(0)
	v_add_f64 v[7:8], v[7:8], v[9:10]
	ds_write_b64 v12, v[7:8]
	s_waitcnt lgkmcnt(0)
	s_barrier
	s_and_saveexec_b64 s[2:3], s[26:27]
	s_cbranch_execz .LBB3_25
; %bb.22:                               ;   in Loop: Header=BB3_3 Depth=1
	ds_read_b64 v[5:6], v11
	ds_read_b64 v[7:8], v20
	s_waitcnt lgkmcnt(0)
	v_cmp_eq_u64_e32 vcc, v[5:6], v[7:8]
	v_mov_b32_e32 v5, 0
	v_mov_b32_e32 v6, 0
	s_and_saveexec_b64 s[8:9], vcc
; %bb.23:                               ;   in Loop: Header=BB3_3 Depth=1
	ds_read_b64 v[5:6], v21
; %bb.24:                               ;   in Loop: Header=BB3_3 Depth=1
	s_or_b64 exec, exec, s[8:9]
.LBB3_25:                               ;   in Loop: Header=BB3_3 Depth=1
	;; [unrolled: 52-line block ×4, first 2 shown]
	s_or_b64 exec, exec, s[2:3]
	s_waitcnt lgkmcnt(0)
	s_barrier
	ds_read_b64 v[7:8], v12
	s_waitcnt lgkmcnt(0)
	v_add_f64 v[7:8], v[5:6], v[7:8]
	v_mov_b32_e32 v5, 0
	v_mov_b32_e32 v6, 0
	ds_write_b64 v12, v[7:8]
	s_waitcnt lgkmcnt(0)
	s_barrier
	s_and_saveexec_b64 s[2:3], s[38:39]
	s_cbranch_execz .LBB3_45
; %bb.42:                               ;   in Loop: Header=BB3_3 Depth=1
	ds_read_b64 v[5:6], v11
	ds_read_b64 v[7:8], v30
	s_waitcnt lgkmcnt(0)
	v_cmp_eq_u64_e32 vcc, v[5:6], v[7:8]
	v_mov_b32_e32 v5, 0
	v_mov_b32_e32 v6, 0
	s_and_saveexec_b64 s[8:9], vcc
; %bb.43:                               ;   in Loop: Header=BB3_3 Depth=1
	ds_read_b64 v[5:6], v31
; %bb.44:                               ;   in Loop: Header=BB3_3 Depth=1
	s_or_b64 exec, exec, s[8:9]
.LBB3_45:                               ;   in Loop: Header=BB3_3 Depth=1
	s_or_b64 exec, exec, s[2:3]
	s_waitcnt lgkmcnt(0)
	s_barrier
	ds_read_b64 v[7:8], v12
	s_waitcnt lgkmcnt(0)
	v_add_f64 v[5:6], v[5:6], v[7:8]
	v_mov_b32_e32 v7, -1
	v_mov_b32_e32 v8, -1
	ds_write_b64 v12, v[5:6]
	s_waitcnt lgkmcnt(0)
	s_barrier
	ds_read_b64 v[5:6], v11
	s_and_saveexec_b64 s[2:3], s[0:1]
; %bb.46:                               ;   in Loop: Header=BB3_3 Depth=1
	ds_read_b64 v[7:8], v11 offset:8
; %bb.47:                               ;   in Loop: Header=BB3_3 Depth=1
	s_or_b64 exec, exec, s[2:3]
	s_waitcnt lgkmcnt(0)
	v_cmp_ne_u64_e32 vcc, v[5:6], v[7:8]
	v_cmp_lt_i64_e64 s[2:3], -1, v[5:6]
	s_and_b64 s[8:9], s[2:3], vcc
	s_and_saveexec_b64 s[2:3], s[8:9]
	s_cbranch_execz .LBB3_2
; %bb.48:                               ;   in Loop: Header=BB3_3 Depth=1
	ds_read_b64 v[7:8], v12
	s_mov_b64 s[8:9], -1
	s_and_b64 vcc, exec, s[40:41]
	s_cbranch_vccz .LBB3_50
; %bb.49:                               ;   in Loop: Header=BB3_3 Depth=1
	v_mul_lo_u32 v32, v6, s14
	v_mul_lo_u32 v33, v5, s15
	v_mad_u64_u32 v[9:10], s[8:9], v5, s14, 0
	s_mov_b64 s[8:9], 0
	v_add3_u32 v10, v10, v33, v32
	v_lshlrev_b64 v[9:10], 3, v[9:10]
	v_mov_b32_e32 v32, s44
	v_add_co_u32_e32 v9, vcc, s33, v9
	v_addc_co_u32_e32 v10, vcc, v32, v10, vcc
	global_load_dwordx2 v[32:33], v[9:10], off
	s_waitcnt vmcnt(0) lgkmcnt(0)
	v_add_f64 v[32:33], v[7:8], v[32:33]
	global_store_dwordx2 v[9:10], v[32:33], off
.LBB3_50:                               ;   in Loop: Header=BB3_3 Depth=1
	s_andn2_b64 vcc, exec, s[8:9]
	s_cbranch_vccnz .LBB3_2
; %bb.51:                               ;   in Loop: Header=BB3_3 Depth=1
	v_lshlrev_b64 v[5:6], 3, v[5:6]
	v_mov_b32_e32 v9, s13
	v_add_co_u32_e32 v5, vcc, s12, v5
	v_addc_co_u32_e32 v6, vcc, v9, v6, vcc
	global_load_dwordx2 v[9:10], v[5:6], off
	s_waitcnt vmcnt(0) lgkmcnt(0)
	v_add_f64 v[7:8], v[7:8], v[9:10]
	global_store_dwordx2 v[5:6], v[7:8], off
	s_branch .LBB3_2
.LBB3_52:
	s_endpgm
	.section	.rodata,"a",@progbits
	.p2align	6, 0x0
	.amdhsa_kernel _ZN9rocsparseL28coommnn_general_block_reduceILj1024EdldEEvT1_S1_PKS1_PKT0_PT2_ll16rocsparse_order_
		.amdhsa_group_segment_fixed_size 16384
		.amdhsa_private_segment_fixed_size 0
		.amdhsa_kernarg_size 60
		.amdhsa_user_sgpr_count 6
		.amdhsa_user_sgpr_private_segment_buffer 1
		.amdhsa_user_sgpr_dispatch_ptr 0
		.amdhsa_user_sgpr_queue_ptr 0
		.amdhsa_user_sgpr_kernarg_segment_ptr 1
		.amdhsa_user_sgpr_dispatch_id 0
		.amdhsa_user_sgpr_flat_scratch_init 0
		.amdhsa_user_sgpr_private_segment_size 0
		.amdhsa_uses_dynamic_stack 0
		.amdhsa_system_sgpr_private_segment_wavefront_offset 0
		.amdhsa_system_sgpr_workgroup_id_x 1
		.amdhsa_system_sgpr_workgroup_id_y 0
		.amdhsa_system_sgpr_workgroup_id_z 1
		.amdhsa_system_sgpr_workgroup_info 0
		.amdhsa_system_vgpr_workitem_id 0
		.amdhsa_next_free_vgpr 34
		.amdhsa_next_free_sgpr 61
		.amdhsa_reserve_vcc 1
		.amdhsa_reserve_flat_scratch 0
		.amdhsa_float_round_mode_32 0
		.amdhsa_float_round_mode_16_64 0
		.amdhsa_float_denorm_mode_32 3
		.amdhsa_float_denorm_mode_16_64 3
		.amdhsa_dx10_clamp 1
		.amdhsa_ieee_mode 1
		.amdhsa_fp16_overflow 0
		.amdhsa_exception_fp_ieee_invalid_op 0
		.amdhsa_exception_fp_denorm_src 0
		.amdhsa_exception_fp_ieee_div_zero 0
		.amdhsa_exception_fp_ieee_overflow 0
		.amdhsa_exception_fp_ieee_underflow 0
		.amdhsa_exception_fp_ieee_inexact 0
		.amdhsa_exception_int_div_zero 0
	.end_amdhsa_kernel
	.section	.text._ZN9rocsparseL28coommnn_general_block_reduceILj1024EdldEEvT1_S1_PKS1_PKT0_PT2_ll16rocsparse_order_,"axG",@progbits,_ZN9rocsparseL28coommnn_general_block_reduceILj1024EdldEEvT1_S1_PKS1_PKT0_PT2_ll16rocsparse_order_,comdat
.Lfunc_end3:
	.size	_ZN9rocsparseL28coommnn_general_block_reduceILj1024EdldEEvT1_S1_PKS1_PKT0_PT2_ll16rocsparse_order_, .Lfunc_end3-_ZN9rocsparseL28coommnn_general_block_reduceILj1024EdldEEvT1_S1_PKS1_PKT0_PT2_ll16rocsparse_order_
                                        ; -- End function
	.set _ZN9rocsparseL28coommnn_general_block_reduceILj1024EdldEEvT1_S1_PKS1_PKT0_PT2_ll16rocsparse_order_.num_vgpr, 34
	.set _ZN9rocsparseL28coommnn_general_block_reduceILj1024EdldEEvT1_S1_PKS1_PKT0_PT2_ll16rocsparse_order_.num_agpr, 0
	.set _ZN9rocsparseL28coommnn_general_block_reduceILj1024EdldEEvT1_S1_PKS1_PKT0_PT2_ll16rocsparse_order_.numbered_sgpr, 50
	.set _ZN9rocsparseL28coommnn_general_block_reduceILj1024EdldEEvT1_S1_PKS1_PKT0_PT2_ll16rocsparse_order_.num_named_barrier, 0
	.set _ZN9rocsparseL28coommnn_general_block_reduceILj1024EdldEEvT1_S1_PKS1_PKT0_PT2_ll16rocsparse_order_.private_seg_size, 0
	.set _ZN9rocsparseL28coommnn_general_block_reduceILj1024EdldEEvT1_S1_PKS1_PKT0_PT2_ll16rocsparse_order_.uses_vcc, 1
	.set _ZN9rocsparseL28coommnn_general_block_reduceILj1024EdldEEvT1_S1_PKS1_PKT0_PT2_ll16rocsparse_order_.uses_flat_scratch, 0
	.set _ZN9rocsparseL28coommnn_general_block_reduceILj1024EdldEEvT1_S1_PKS1_PKT0_PT2_ll16rocsparse_order_.has_dyn_sized_stack, 0
	.set _ZN9rocsparseL28coommnn_general_block_reduceILj1024EdldEEvT1_S1_PKS1_PKT0_PT2_ll16rocsparse_order_.has_recursion, 0
	.set _ZN9rocsparseL28coommnn_general_block_reduceILj1024EdldEEvT1_S1_PKS1_PKT0_PT2_ll16rocsparse_order_.has_indirect_call, 0
	.section	.AMDGPU.csdata,"",@progbits
; Kernel info:
; codeLenInByte = 2068
; TotalNumSgprs: 54
; NumVgprs: 34
; ScratchSize: 0
; MemoryBound: 0
; FloatMode: 240
; IeeeMode: 1
; LDSByteSize: 16384 bytes/workgroup (compile time only)
; SGPRBlocks: 8
; VGPRBlocks: 8
; NumSGPRsForWavesPerEU: 65
; NumVGPRsForWavesPerEU: 34
; Occupancy: 7
; WaveLimiterHint : 0
; COMPUTE_PGM_RSRC2:SCRATCH_EN: 0
; COMPUTE_PGM_RSRC2:USER_SGPR: 6
; COMPUTE_PGM_RSRC2:TRAP_HANDLER: 0
; COMPUTE_PGM_RSRC2:TGID_X_EN: 1
; COMPUTE_PGM_RSRC2:TGID_Y_EN: 0
; COMPUTE_PGM_RSRC2:TGID_Z_EN: 1
; COMPUTE_PGM_RSRC2:TIDIG_COMP_CNT: 0
	.section	.text._ZN9rocsparseL28coommnn_general_block_reduceILj1024E21rocsparse_complex_numIfEiS2_EEvT1_S3_PKS3_PKT0_PT2_ll16rocsparse_order_,"axG",@progbits,_ZN9rocsparseL28coommnn_general_block_reduceILj1024E21rocsparse_complex_numIfEiS2_EEvT1_S3_PKS3_PKT0_PT2_ll16rocsparse_order_,comdat
	.globl	_ZN9rocsparseL28coommnn_general_block_reduceILj1024E21rocsparse_complex_numIfEiS2_EEvT1_S3_PKS3_PKT0_PT2_ll16rocsparse_order_ ; -- Begin function _ZN9rocsparseL28coommnn_general_block_reduceILj1024E21rocsparse_complex_numIfEiS2_EEvT1_S3_PKS3_PKT0_PT2_ll16rocsparse_order_
	.p2align	8
	.type	_ZN9rocsparseL28coommnn_general_block_reduceILj1024E21rocsparse_complex_numIfEiS2_EEvT1_S3_PKS3_PKT0_PT2_ll16rocsparse_order_,@function
_ZN9rocsparseL28coommnn_general_block_reduceILj1024E21rocsparse_complex_numIfEiS2_EEvT1_S3_PKS3_PKT0_PT2_ll16rocsparse_order_: ; @_ZN9rocsparseL28coommnn_general_block_reduceILj1024E21rocsparse_complex_numIfEiS2_EEvT1_S3_PKS3_PKT0_PT2_ll16rocsparse_order_
; %bb.0:
	s_load_dwordx2 s[16:17], s[4:5], 0x0
	s_waitcnt lgkmcnt(0)
	s_cmp_lt_i32 s17, 1
	s_cbranch_scc1 .LBB4_52
; %bb.1:
	v_mov_b32_e32 v1, 0x2000
	v_subrev_co_u32_e32 v2, vcc, 1, v0
	s_load_dwordx8 s[8:15], s[4:5], 0x8
	s_load_dwordx2 s[2:3], s[4:5], 0x28
	s_load_dword s33, s[4:5], 0x30
	s_xor_b64 s[4:5], vcc, -1
	v_lshl_add_u32 v9, v2, 2, v1
	v_subrev_co_u32_e32 v2, vcc, 2, v0
	s_xor_b64 s[18:19], vcc, -1
	v_lshl_add_u32 v10, v2, 2, v1
	v_subrev_co_u32_e32 v2, vcc, 4, v0
	;; [unrolled: 3-line block ×3, first 2 shown]
	s_mul_i32 s0, s16, s7
	s_xor_b64 s[22:23], vcc, -1
	v_lshl_add_u32 v13, v2, 2, v1
	v_subrev_co_u32_e32 v2, vcc, 16, v0
	s_add_i32 s0, s0, s6
	s_xor_b64 s[24:25], vcc, -1
	v_lshl_add_u32 v15, v2, 2, v1
	v_subrev_co_u32_e32 v2, vcc, 32, v0
	s_mul_i32 s43, s0, s17
	s_xor_b64 s[26:27], vcc, -1
	v_lshl_add_u32 v17, v2, 2, v1
	v_subrev_co_u32_e32 v2, vcc, 64, v0
	s_movk_i32 s0, 0x80
	s_xor_b64 s[28:29], vcc, -1
	v_lshl_add_u32 v19, v2, 2, v1
	v_subrev_co_u32_e32 v2, vcc, s0, v0
	s_movk_i32 s0, 0x100
	;; [unrolled: 4-line block ×3, first 2 shown]
	s_xor_b64 s[34:35], vcc, -1
	v_lshl_add_u32 v23, v2, 2, v1
	v_subrev_co_u32_e32 v2, vcc, s0, v0
	s_xor_b64 s[36:37], vcc, -1
	s_waitcnt lgkmcnt(0)
	s_cmp_lg_u32 s33, 1
	s_mov_b32 s16, s7
	s_cselect_b64 s[38:39], -1, 0
	s_ashr_i32 s33, s16, 31
	s_mul_hi_u32 s40, s2, s16
	s_mul_i32 s33, s2, s33
	s_mul_i32 s42, s17, s7
	s_ashr_i32 s7, s6, 31
	s_add_i32 s33, s40, s33
	s_mul_i32 s3, s3, s16
	s_add_i32 s3, s33, s3
	s_lshl_b64 s[40:41], s[6:7], 3
	s_mul_i32 s2, s2, s16
	s_add_u32 s16, s12, s40
	s_addc_u32 s33, s13, s41
	s_lshl_b64 s[2:3], s[2:3], 3
	s_add_u32 s16, s16, s2
	s_mul_hi_u32 s40, s14, s6
	s_mul_i32 s7, s14, s7
	s_addc_u32 s33, s33, s3
	s_add_i32 s7, s40, s7
	s_mul_i32 s40, s15, s6
	s_add_i32 s7, s7, s40
	s_mul_i32 s6, s14, s6
	s_lshl_b64 s[6:7], s[6:7], 3
	s_add_u32 s6, s12, s6
	s_addc_u32 s7, s13, s7
	v_lshlrev_b32_e32 v8, 3, v0
	s_movk_i32 s0, 0x3ff
	s_add_u32 s12, s6, s2
	v_lshl_or_b32 v7, v0, 2, v1
	v_subrev_u32_e32 v12, 32, v8
	v_subrev_u32_e32 v14, 64, v8
	v_add_u32_e32 v16, 0xffffff80, v8
	v_add_u32_e32 v18, 0xffffff00, v8
	;; [unrolled: 1-line block ×5, first 2 shown]
	v_lshl_add_u32 v25, v2, 2, v1
	v_add_u32_e32 v26, 0xfffff000, v8
	v_cmp_ne_u32_e64 s[0:1], s0, v0
	s_addc_u32 s13, s7, s3
	v_add_u32_e32 v27, s42, v0
	v_add_u32_e32 v28, s43, v0
	s_mov_b32 s40, 0
	v_mov_b32_e32 v2, 0
	s_branch .LBB4_3
.LBB4_2:                                ;   in Loop: Header=BB4_3 Depth=1
	s_or_b64 exec, exec, s[2:3]
	s_addk_i32 s40, 0x400
	s_cmp_ge_i32 s40, s17
	s_waitcnt vmcnt(0)
	s_barrier
	s_cbranch_scc1 .LBB4_52
.LBB4_3:                                ; =>This Inner Loop Header: Depth=1
	v_add_u32_e32 v1, s40, v0
	v_cmp_gt_i32_e32 vcc, s17, v1
	v_mov_b32_e32 v1, -1
	v_mov_b32_e32 v4, 0
	v_mov_b32_e32 v3, 0
	s_and_saveexec_b64 s[2:3], vcc
	s_cbranch_execz .LBB4_5
; %bb.4:                                ;   in Loop: Header=BB4_3 Depth=1
	v_add_u32_e32 v3, s40, v27
	v_ashrrev_i32_e32 v4, 31, v3
	v_lshlrev_b64 v[3:4], 2, v[3:4]
	v_mov_b32_e32 v1, s9
	v_add_co_u32_e32 v3, vcc, s8, v3
	v_addc_co_u32_e32 v4, vcc, v1, v4, vcc
	global_load_dword v1, v[3:4], off
	v_add_u32_e32 v3, s40, v28
	v_ashrrev_i32_e32 v4, 31, v3
	v_lshlrev_b64 v[3:4], 3, v[3:4]
	v_mov_b32_e32 v5, s11
	v_add_co_u32_e32 v3, vcc, s10, v3
	v_addc_co_u32_e32 v4, vcc, v5, v4, vcc
	global_load_dwordx2 v[3:4], v[3:4], off
.LBB4_5:                                ;   in Loop: Header=BB4_3 Depth=1
	s_or_b64 exec, exec, s[2:3]
	s_waitcnt vmcnt(1)
	ds_write_b32 v7, v1
	s_waitcnt vmcnt(0)
	ds_write_b64 v8, v[3:4]
	v_mov_b32_e32 v4, 0
	v_mov_b32_e32 v6, 0
	;; [unrolled: 1-line block ×3, first 2 shown]
	s_waitcnt lgkmcnt(0)
	s_barrier
	s_and_saveexec_b64 s[2:3], s[4:5]
	s_cbranch_execz .LBB4_9
; %bb.6:                                ;   in Loop: Header=BB4_3 Depth=1
	ds_read2_b32 v[29:30], v9 offset1:1
	v_mov_b32_e32 v5, 0
	v_mov_b32_e32 v6, 0
	s_waitcnt lgkmcnt(0)
	v_cmp_eq_u32_e32 vcc, v30, v29
	s_and_saveexec_b64 s[6:7], vcc
; %bb.7:                                ;   in Loop: Header=BB4_3 Depth=1
	v_add_u32_e32 v1, -8, v8
	ds_read_b64 v[5:6], v1
; %bb.8:                                ;   in Loop: Header=BB4_3 Depth=1
	s_or_b64 exec, exec, s[6:7]
.LBB4_9:                                ;   in Loop: Header=BB4_3 Depth=1
	s_or_b64 exec, exec, s[2:3]
	s_waitcnt lgkmcnt(0)
	s_barrier
	ds_read_b64 v[29:30], v8
	v_mov_b32_e32 v3, 0
	s_waitcnt lgkmcnt(0)
	v_add_f32_e32 v5, v5, v29
	v_add_f32_e32 v6, v6, v30
	ds_write_b64 v8, v[5:6]
	s_waitcnt lgkmcnt(0)
	s_barrier
	s_and_saveexec_b64 s[2:3], s[18:19]
	s_cbranch_execz .LBB4_13
; %bb.10:                               ;   in Loop: Header=BB4_3 Depth=1
	ds_read_b32 v1, v7
	ds_read_b32 v4, v10
	v_mov_b32_e32 v3, 0
	s_waitcnt lgkmcnt(0)
	v_cmp_eq_u32_e32 vcc, v1, v4
	v_mov_b32_e32 v4, 0
	s_and_saveexec_b64 s[6:7], vcc
; %bb.11:                               ;   in Loop: Header=BB4_3 Depth=1
	v_add_u32_e32 v1, -16, v8
	ds_read_b64 v[3:4], v1
; %bb.12:                               ;   in Loop: Header=BB4_3 Depth=1
	s_or_b64 exec, exec, s[6:7]
.LBB4_13:                               ;   in Loop: Header=BB4_3 Depth=1
	s_or_b64 exec, exec, s[2:3]
	s_waitcnt lgkmcnt(0)
	s_barrier
	ds_read_b64 v[5:6], v8
	s_waitcnt lgkmcnt(0)
	v_add_f32_e32 v3, v3, v5
	v_add_f32_e32 v4, v4, v6
	ds_write_b64 v8, v[3:4]
	v_mov_b32_e32 v4, 0
	v_mov_b32_e32 v6, 0
	v_mov_b32_e32 v5, 0
	s_waitcnt lgkmcnt(0)
	s_barrier
	s_and_saveexec_b64 s[2:3], s[20:21]
	s_cbranch_execz .LBB4_17
; %bb.14:                               ;   in Loop: Header=BB4_3 Depth=1
	ds_read_b32 v1, v7
	ds_read_b32 v3, v11
	v_mov_b32_e32 v5, 0
	v_mov_b32_e32 v6, 0
	s_waitcnt lgkmcnt(0)
	v_cmp_eq_u32_e32 vcc, v1, v3
	s_and_saveexec_b64 s[6:7], vcc
; %bb.15:                               ;   in Loop: Header=BB4_3 Depth=1
	ds_read_b64 v[5:6], v12
; %bb.16:                               ;   in Loop: Header=BB4_3 Depth=1
	s_or_b64 exec, exec, s[6:7]
.LBB4_17:                               ;   in Loop: Header=BB4_3 Depth=1
	s_or_b64 exec, exec, s[2:3]
	s_waitcnt lgkmcnt(0)
	s_barrier
	ds_read_b64 v[29:30], v8
	v_mov_b32_e32 v3, 0
	s_waitcnt lgkmcnt(0)
	v_add_f32_e32 v5, v5, v29
	v_add_f32_e32 v6, v6, v30
	ds_write_b64 v8, v[5:6]
	s_waitcnt lgkmcnt(0)
	s_barrier
	s_and_saveexec_b64 s[2:3], s[22:23]
	s_cbranch_execz .LBB4_21
; %bb.18:                               ;   in Loop: Header=BB4_3 Depth=1
	ds_read_b32 v1, v7
	ds_read_b32 v4, v13
	v_mov_b32_e32 v3, 0
	s_waitcnt lgkmcnt(0)
	v_cmp_eq_u32_e32 vcc, v1, v4
	v_mov_b32_e32 v4, 0
	s_and_saveexec_b64 s[6:7], vcc
; %bb.19:                               ;   in Loop: Header=BB4_3 Depth=1
	ds_read_b64 v[3:4], v14
; %bb.20:                               ;   in Loop: Header=BB4_3 Depth=1
	s_or_b64 exec, exec, s[6:7]
.LBB4_21:                               ;   in Loop: Header=BB4_3 Depth=1
	s_or_b64 exec, exec, s[2:3]
	s_waitcnt lgkmcnt(0)
	s_barrier
	ds_read_b64 v[5:6], v8
	s_waitcnt lgkmcnt(0)
	v_add_f32_e32 v3, v3, v5
	v_add_f32_e32 v4, v4, v6
	ds_write_b64 v8, v[3:4]
	v_mov_b32_e32 v4, 0
	v_mov_b32_e32 v6, 0
	v_mov_b32_e32 v5, 0
	s_waitcnt lgkmcnt(0)
	s_barrier
	s_and_saveexec_b64 s[2:3], s[24:25]
	s_cbranch_execz .LBB4_25
; %bb.22:                               ;   in Loop: Header=BB4_3 Depth=1
	ds_read_b32 v1, v7
	ds_read_b32 v3, v15
	v_mov_b32_e32 v5, 0
	v_mov_b32_e32 v6, 0
	s_waitcnt lgkmcnt(0)
	v_cmp_eq_u32_e32 vcc, v1, v3
	s_and_saveexec_b64 s[6:7], vcc
; %bb.23:                               ;   in Loop: Header=BB4_3 Depth=1
	ds_read_b64 v[5:6], v16
; %bb.24:                               ;   in Loop: Header=BB4_3 Depth=1
	s_or_b64 exec, exec, s[6:7]
.LBB4_25:                               ;   in Loop: Header=BB4_3 Depth=1
	s_or_b64 exec, exec, s[2:3]
	s_waitcnt lgkmcnt(0)
	s_barrier
	ds_read_b64 v[29:30], v8
	v_mov_b32_e32 v3, 0
	s_waitcnt lgkmcnt(0)
	v_add_f32_e32 v5, v5, v29
	v_add_f32_e32 v6, v6, v30
	ds_write_b64 v8, v[5:6]
	s_waitcnt lgkmcnt(0)
	s_barrier
	s_and_saveexec_b64 s[2:3], s[26:27]
	s_cbranch_execz .LBB4_29
; %bb.26:                               ;   in Loop: Header=BB4_3 Depth=1
	ds_read_b32 v1, v7
	ds_read_b32 v4, v17
	v_mov_b32_e32 v3, 0
	s_waitcnt lgkmcnt(0)
	v_cmp_eq_u32_e32 vcc, v1, v4
	v_mov_b32_e32 v4, 0
	s_and_saveexec_b64 s[6:7], vcc
; %bb.27:                               ;   in Loop: Header=BB4_3 Depth=1
	ds_read_b64 v[3:4], v18
; %bb.28:                               ;   in Loop: Header=BB4_3 Depth=1
	s_or_b64 exec, exec, s[6:7]
.LBB4_29:                               ;   in Loop: Header=BB4_3 Depth=1
	;; [unrolled: 54-line block ×4, first 2 shown]
	s_or_b64 exec, exec, s[2:3]
	s_waitcnt lgkmcnt(0)
	s_barrier
	ds_read_b64 v[5:6], v8
	s_waitcnt lgkmcnt(0)
	v_add_f32_e32 v3, v3, v5
	v_add_f32_e32 v4, v4, v6
	ds_write_b64 v8, v[3:4]
	s_waitcnt lgkmcnt(0)
	s_barrier
	ds_read_b32 v1, v7
	v_mov_b32_e32 v3, -1
	s_and_saveexec_b64 s[2:3], s[0:1]
; %bb.46:                               ;   in Loop: Header=BB4_3 Depth=1
	ds_read_b32 v3, v7 offset:4
; %bb.47:                               ;   in Loop: Header=BB4_3 Depth=1
	s_or_b64 exec, exec, s[2:3]
	s_waitcnt lgkmcnt(0)
	v_cmp_ne_u32_e32 vcc, v1, v3
	v_cmp_lt_i32_e64 s[2:3], -1, v1
	s_and_b64 s[6:7], s[2:3], vcc
	s_and_saveexec_b64 s[2:3], s[6:7]
	s_cbranch_execz .LBB4_2
; %bb.48:                               ;   in Loop: Header=BB4_3 Depth=1
	s_mov_b64 s[6:7], -1
	s_and_b64 vcc, exec, s[38:39]
	s_cbranch_vccz .LBB4_50
; %bb.49:                               ;   in Loop: Header=BB4_3 Depth=1
	v_mad_u64_u32 v[3:4], s[6:7], s14, v1, 0
	ds_read_b64 v[29:30], v8
	v_mad_u64_u32 v[4:5], s[6:7], s15, v1, v[4:5]
	v_mov_b32_e32 v5, s33
	s_mov_b64 s[6:7], 0
	v_lshlrev_b64 v[3:4], 3, v[3:4]
	v_add_co_u32_e32 v3, vcc, s16, v3
	v_addc_co_u32_e32 v4, vcc, v5, v4, vcc
	global_load_dwordx2 v[5:6], v[3:4], off
	s_waitcnt vmcnt(0) lgkmcnt(0)
	v_add_f32_e32 v5, v29, v5
	v_add_f32_e32 v6, v30, v6
	global_store_dwordx2 v[3:4], v[5:6], off
.LBB4_50:                               ;   in Loop: Header=BB4_3 Depth=1
	s_andn2_b64 vcc, exec, s[6:7]
	s_cbranch_vccnz .LBB4_2
; %bb.51:                               ;   in Loop: Header=BB4_3 Depth=1
	v_lshlrev_b64 v[3:4], 3, v[1:2]
	v_mov_b32_e32 v1, s13
	v_add_co_u32_e32 v3, vcc, s12, v3
	v_addc_co_u32_e32 v4, vcc, v1, v4, vcc
	global_load_dwordx2 v[5:6], v[3:4], off
	ds_read_b64 v[29:30], v8
	s_waitcnt vmcnt(0) lgkmcnt(0)
	v_add_f32_e32 v5, v29, v5
	v_add_f32_e32 v6, v30, v6
	global_store_dwordx2 v[3:4], v[5:6], off
	s_branch .LBB4_2
.LBB4_52:
	s_endpgm
	.section	.rodata,"a",@progbits
	.p2align	6, 0x0
	.amdhsa_kernel _ZN9rocsparseL28coommnn_general_block_reduceILj1024E21rocsparse_complex_numIfEiS2_EEvT1_S3_PKS3_PKT0_PT2_ll16rocsparse_order_
		.amdhsa_group_segment_fixed_size 12288
		.amdhsa_private_segment_fixed_size 0
		.amdhsa_kernarg_size 52
		.amdhsa_user_sgpr_count 6
		.amdhsa_user_sgpr_private_segment_buffer 1
		.amdhsa_user_sgpr_dispatch_ptr 0
		.amdhsa_user_sgpr_queue_ptr 0
		.amdhsa_user_sgpr_kernarg_segment_ptr 1
		.amdhsa_user_sgpr_dispatch_id 0
		.amdhsa_user_sgpr_flat_scratch_init 0
		.amdhsa_user_sgpr_private_segment_size 0
		.amdhsa_uses_dynamic_stack 0
		.amdhsa_system_sgpr_private_segment_wavefront_offset 0
		.amdhsa_system_sgpr_workgroup_id_x 1
		.amdhsa_system_sgpr_workgroup_id_y 0
		.amdhsa_system_sgpr_workgroup_id_z 1
		.amdhsa_system_sgpr_workgroup_info 0
		.amdhsa_system_vgpr_workitem_id 0
		.amdhsa_next_free_vgpr 31
		.amdhsa_next_free_sgpr 61
		.amdhsa_reserve_vcc 1
		.amdhsa_reserve_flat_scratch 0
		.amdhsa_float_round_mode_32 0
		.amdhsa_float_round_mode_16_64 0
		.amdhsa_float_denorm_mode_32 3
		.amdhsa_float_denorm_mode_16_64 3
		.amdhsa_dx10_clamp 1
		.amdhsa_ieee_mode 1
		.amdhsa_fp16_overflow 0
		.amdhsa_exception_fp_ieee_invalid_op 0
		.amdhsa_exception_fp_denorm_src 0
		.amdhsa_exception_fp_ieee_div_zero 0
		.amdhsa_exception_fp_ieee_overflow 0
		.amdhsa_exception_fp_ieee_underflow 0
		.amdhsa_exception_fp_ieee_inexact 0
		.amdhsa_exception_int_div_zero 0
	.end_amdhsa_kernel
	.section	.text._ZN9rocsparseL28coommnn_general_block_reduceILj1024E21rocsparse_complex_numIfEiS2_EEvT1_S3_PKS3_PKT0_PT2_ll16rocsparse_order_,"axG",@progbits,_ZN9rocsparseL28coommnn_general_block_reduceILj1024E21rocsparse_complex_numIfEiS2_EEvT1_S3_PKS3_PKT0_PT2_ll16rocsparse_order_,comdat
.Lfunc_end4:
	.size	_ZN9rocsparseL28coommnn_general_block_reduceILj1024E21rocsparse_complex_numIfEiS2_EEvT1_S3_PKS3_PKT0_PT2_ll16rocsparse_order_, .Lfunc_end4-_ZN9rocsparseL28coommnn_general_block_reduceILj1024E21rocsparse_complex_numIfEiS2_EEvT1_S3_PKS3_PKT0_PT2_ll16rocsparse_order_
                                        ; -- End function
	.set _ZN9rocsparseL28coommnn_general_block_reduceILj1024E21rocsparse_complex_numIfEiS2_EEvT1_S3_PKS3_PKT0_PT2_ll16rocsparse_order_.num_vgpr, 31
	.set _ZN9rocsparseL28coommnn_general_block_reduceILj1024E21rocsparse_complex_numIfEiS2_EEvT1_S3_PKS3_PKT0_PT2_ll16rocsparse_order_.num_agpr, 0
	.set _ZN9rocsparseL28coommnn_general_block_reduceILj1024E21rocsparse_complex_numIfEiS2_EEvT1_S3_PKS3_PKT0_PT2_ll16rocsparse_order_.numbered_sgpr, 44
	.set _ZN9rocsparseL28coommnn_general_block_reduceILj1024E21rocsparse_complex_numIfEiS2_EEvT1_S3_PKS3_PKT0_PT2_ll16rocsparse_order_.num_named_barrier, 0
	.set _ZN9rocsparseL28coommnn_general_block_reduceILj1024E21rocsparse_complex_numIfEiS2_EEvT1_S3_PKS3_PKT0_PT2_ll16rocsparse_order_.private_seg_size, 0
	.set _ZN9rocsparseL28coommnn_general_block_reduceILj1024E21rocsparse_complex_numIfEiS2_EEvT1_S3_PKS3_PKT0_PT2_ll16rocsparse_order_.uses_vcc, 1
	.set _ZN9rocsparseL28coommnn_general_block_reduceILj1024E21rocsparse_complex_numIfEiS2_EEvT1_S3_PKS3_PKT0_PT2_ll16rocsparse_order_.uses_flat_scratch, 0
	.set _ZN9rocsparseL28coommnn_general_block_reduceILj1024E21rocsparse_complex_numIfEiS2_EEvT1_S3_PKS3_PKT0_PT2_ll16rocsparse_order_.has_dyn_sized_stack, 0
	.set _ZN9rocsparseL28coommnn_general_block_reduceILj1024E21rocsparse_complex_numIfEiS2_EEvT1_S3_PKS3_PKT0_PT2_ll16rocsparse_order_.has_recursion, 0
	.set _ZN9rocsparseL28coommnn_general_block_reduceILj1024E21rocsparse_complex_numIfEiS2_EEvT1_S3_PKS3_PKT0_PT2_ll16rocsparse_order_.has_indirect_call, 0
	.section	.AMDGPU.csdata,"",@progbits
; Kernel info:
; codeLenInByte = 1952
; TotalNumSgprs: 48
; NumVgprs: 31
; ScratchSize: 0
; MemoryBound: 0
; FloatMode: 240
; IeeeMode: 1
; LDSByteSize: 12288 bytes/workgroup (compile time only)
; SGPRBlocks: 8
; VGPRBlocks: 7
; NumSGPRsForWavesPerEU: 65
; NumVGPRsForWavesPerEU: 31
; Occupancy: 8
; WaveLimiterHint : 0
; COMPUTE_PGM_RSRC2:SCRATCH_EN: 0
; COMPUTE_PGM_RSRC2:USER_SGPR: 6
; COMPUTE_PGM_RSRC2:TRAP_HANDLER: 0
; COMPUTE_PGM_RSRC2:TGID_X_EN: 1
; COMPUTE_PGM_RSRC2:TGID_Y_EN: 0
; COMPUTE_PGM_RSRC2:TGID_Z_EN: 1
; COMPUTE_PGM_RSRC2:TIDIG_COMP_CNT: 0
	.section	.text._ZN9rocsparseL28coommnn_general_block_reduceILj1024E21rocsparse_complex_numIfElS2_EEvT1_S3_PKS3_PKT0_PT2_ll16rocsparse_order_,"axG",@progbits,_ZN9rocsparseL28coommnn_general_block_reduceILj1024E21rocsparse_complex_numIfElS2_EEvT1_S3_PKS3_PKT0_PT2_ll16rocsparse_order_,comdat
	.globl	_ZN9rocsparseL28coommnn_general_block_reduceILj1024E21rocsparse_complex_numIfElS2_EEvT1_S3_PKS3_PKT0_PT2_ll16rocsparse_order_ ; -- Begin function _ZN9rocsparseL28coommnn_general_block_reduceILj1024E21rocsparse_complex_numIfElS2_EEvT1_S3_PKS3_PKT0_PT2_ll16rocsparse_order_
	.p2align	8
	.type	_ZN9rocsparseL28coommnn_general_block_reduceILj1024E21rocsparse_complex_numIfElS2_EEvT1_S3_PKS3_PKT0_PT2_ll16rocsparse_order_,@function
_ZN9rocsparseL28coommnn_general_block_reduceILj1024E21rocsparse_complex_numIfElS2_EEvT1_S3_PKS3_PKT0_PT2_ll16rocsparse_order_: ; @_ZN9rocsparseL28coommnn_general_block_reduceILj1024E21rocsparse_complex_numIfElS2_EEvT1_S3_PKS3_PKT0_PT2_ll16rocsparse_order_
; %bb.0:
	s_load_dwordx4 s[16:19], s[4:5], 0x0
	s_waitcnt lgkmcnt(0)
	v_cmp_lt_i64_e64 s[0:1], s[18:19], 1
	s_and_b64 vcc, exec, s[0:1]
	s_cbranch_vccnz .LBB5_52
; %bb.1:
	s_load_dwordx8 s[8:15], s[4:5], 0x10
	s_load_dwordx2 s[44:45], s[4:5], 0x30
	s_load_dword s3, s[4:5], 0x38
	s_mov_b32 s2, s7
	s_mov_b32 s7, 0
	s_lshl_b64 s[42:43], s[6:7], 3
	s_waitcnt lgkmcnt(0)
	s_add_u32 s7, s12, s42
	v_subrev_co_u32_e32 v1, vcc, 1, v0
	v_mov_b32_e32 v2, 0x2000
	s_addc_u32 s48, s13, s43
	s_xor_b64 s[4:5], vcc, -1
	v_lshl_add_u32 v11, v1, 3, v2
	v_subrev_co_u32_e32 v1, vcc, 2, v0
	s_xor_b64 s[20:21], vcc, -1
	v_lshl_add_u32 v12, v1, 3, v2
	v_subrev_co_u32_e32 v1, vcc, 4, v0
	;; [unrolled: 3-line block ×6, first 2 shown]
	s_movk_i32 s0, 0x80
	s_xor_b64 s[30:31], vcc, -1
	v_lshl_add_u32 v20, v1, 3, v2
	v_subrev_co_u32_e32 v1, vcc, s0, v0
	s_movk_i32 s0, 0x100
	s_xor_b64 s[34:35], vcc, -1
	v_lshl_add_u32 v22, v1, 3, v2
	v_subrev_co_u32_e32 v1, vcc, s0, v0
	;; [unrolled: 4-line block ×3, first 2 shown]
	s_ashr_i32 s49, s2, 31
	s_xor_b64 s[38:39], vcc, -1
	s_cmp_lg_u32 s3, 1
	s_mul_hi_u32 s3, s44, s2
	s_mul_i32 s33, s44, s49
	s_cselect_b64 s[40:41], -1, 0
	s_add_i32 s3, s3, s33
	s_mul_i32 s33, s45, s2
	s_add_i32 s45, s3, s33
	s_mul_i32 s44, s44, s2
	s_lshl_b64 s[46:47], s[44:45], 3
	s_add_u32 s33, s7, s46
	s_mul_i32 s3, s15, s6
	s_mul_hi_u32 s7, s14, s6
	s_addc_u32 s44, s48, s47
	s_add_i32 s7, s7, s3
	s_mul_i32 s6, s14, s6
	s_lshl_b64 s[6:7], s[6:7], 3
	s_add_u32 s3, s12, s6
	s_addc_u32 s6, s13, s7
	s_add_u32 s12, s3, s46
	s_addc_u32 s13, s6, s47
	s_mul_hi_u32 s3, s18, s2
	s_mul_i32 s6, s18, s49
	s_add_i32 s3, s3, s6
	s_mul_i32 s6, s19, s2
	s_add_i32 s7, s3, s6
	s_mul_i32 s6, s18, s2
	s_lshl_b64 s[6:7], s[6:7], 3
	s_add_u32 s3, s8, s6
	v_lshlrev_b32_e32 v9, 3, v0
	s_addc_u32 s6, s9, s7
	v_lshl_add_u32 v26, v1, 3, v2
	v_mov_b32_e32 v2, s6
	v_add_co_u32_e32 v1, vcc, s3, v9
	s_mul_hi_u32 s3, s16, s2
	s_mul_i32 s6, s16, s49
	s_add_i32 s3, s3, s6
	s_mul_i32 s6, s17, s2
	s_add_i32 s3, s3, s6
	s_mul_i32 s2, s16, s2
	s_lshl_b64 s[2:3], s[2:3], 3
	s_add_u32 s2, s2, s42
	s_addc_u32 s3, s3, s43
	s_mul_i32 s3, s18, s3
	s_mul_hi_u32 s6, s18, s2
	s_add_i32 s3, s6, s3
	s_mul_i32 s6, s19, s2
	s_add_i32 s3, s3, s6
	s_mul_i32 s2, s18, s2
	s_add_u32 s2, s10, s2
	v_addc_co_u32_e32 v2, vcc, 0, v2, vcc
	s_addc_u32 s3, s11, s3
	v_mov_b32_e32 v3, s3
	v_add_co_u32_e32 v4, vcc, s2, v9
	v_addc_co_u32_e32 v5, vcc, 0, v3, vcc
	s_movk_i32 s0, 0x3ff
	v_add_co_u32_e32 v3, vcc, 4, v4
	v_or_b32_e32 v10, 0x2000, v9
	v_add_u32_e32 v15, 0xffffff80, v9
	v_add_u32_e32 v17, 0xffffff00, v9
	;; [unrolled: 1-line block ×6, first 2 shown]
	v_cmp_ne_u32_e64 s[0:1], s0, v0
	v_addc_co_u32_e32 v4, vcc, 0, v5, vcc
	s_mov_b64 s[6:7], 0
	s_branch .LBB5_3
.LBB5_2:                                ;   in Loop: Header=BB5_3 Depth=1
	s_or_b64 exec, exec, s[2:3]
	s_add_u32 s6, s6, 0x400
	v_add_co_u32_e32 v1, vcc, 0x2000, v1
	v_mov_b32_e32 v5, s18
	s_addc_u32 s7, s7, 0
	v_addc_co_u32_e32 v2, vcc, 0, v2, vcc
	v_mov_b32_e32 v6, s19
	v_add_co_u32_e32 v3, vcc, 0x2000, v3
	v_cmp_ge_i64_e64 s[2:3], s[6:7], v[5:6]
	v_addc_co_u32_e32 v4, vcc, 0, v4, vcc
	s_and_b64 vcc, exec, s[2:3]
	s_waitcnt vmcnt(0)
	s_barrier
	s_cbranch_vccnz .LBB5_52
.LBB5_3:                                ; =>This Inner Loop Header: Depth=1
	v_mov_b32_e32 v6, s7
	v_add_co_u32_e32 v5, vcc, s6, v0
	v_addc_co_u32_e32 v6, vcc, 0, v6, vcc
	v_cmp_gt_i64_e32 vcc, s[18:19], v[5:6]
	v_mov_b32_e32 v7, -1
	v_mov_b32_e32 v8, -1
	v_mov_b32_e32 v6, 0
	v_mov_b32_e32 v5, 0
	s_and_saveexec_b64 s[2:3], vcc
	s_cbranch_execz .LBB5_5
; %bb.4:                                ;   in Loop: Header=BB5_3 Depth=1
	global_load_dwordx2 v[7:8], v[1:2], off
	global_load_dwordx2 v[5:6], v[3:4], off offset:-4
.LBB5_5:                                ;   in Loop: Header=BB5_3 Depth=1
	s_or_b64 exec, exec, s[2:3]
	s_waitcnt vmcnt(1)
	ds_write_b64 v9, v[7:8]
	s_waitcnt vmcnt(0)
	ds_write_b64 v10, v[5:6]
	v_mov_b32_e32 v6, 0
	v_mov_b32_e32 v8, 0
	;; [unrolled: 1-line block ×3, first 2 shown]
	s_waitcnt lgkmcnt(0)
	s_barrier
	s_and_saveexec_b64 s[2:3], s[4:5]
	s_cbranch_execz .LBB5_9
; %bb.6:                                ;   in Loop: Header=BB5_3 Depth=1
	v_add_u32_e32 v5, -8, v9
	ds_read2_b64 v[27:30], v5 offset1:1
	v_mov_b32_e32 v7, 0
	v_mov_b32_e32 v8, 0
	s_waitcnt lgkmcnt(0)
	v_cmp_eq_u64_e32 vcc, v[29:30], v[27:28]
	s_and_saveexec_b64 s[8:9], vcc
; %bb.7:                                ;   in Loop: Header=BB5_3 Depth=1
	ds_read_b64 v[7:8], v11
; %bb.8:                                ;   in Loop: Header=BB5_3 Depth=1
	s_or_b64 exec, exec, s[8:9]
.LBB5_9:                                ;   in Loop: Header=BB5_3 Depth=1
	s_or_b64 exec, exec, s[2:3]
	s_waitcnt lgkmcnt(0)
	s_barrier
	ds_read_b64 v[27:28], v10
	v_mov_b32_e32 v5, 0
	s_waitcnt lgkmcnt(0)
	v_add_f32_e32 v7, v7, v27
	v_add_f32_e32 v8, v8, v28
	ds_write_b64 v10, v[7:8]
	s_waitcnt lgkmcnt(0)
	s_barrier
	s_and_saveexec_b64 s[2:3], s[20:21]
	s_cbranch_execz .LBB5_13
; %bb.10:                               ;   in Loop: Header=BB5_3 Depth=1
	v_add_u32_e32 v7, -16, v9
	ds_read_b64 v[5:6], v9
	ds_read_b64 v[7:8], v7
	s_waitcnt lgkmcnt(0)
	v_cmp_eq_u64_e32 vcc, v[5:6], v[7:8]
	v_mov_b32_e32 v5, 0
	v_mov_b32_e32 v6, 0
	s_and_saveexec_b64 s[8:9], vcc
; %bb.11:                               ;   in Loop: Header=BB5_3 Depth=1
	ds_read_b64 v[5:6], v12
; %bb.12:                               ;   in Loop: Header=BB5_3 Depth=1
	s_or_b64 exec, exec, s[8:9]
.LBB5_13:                               ;   in Loop: Header=BB5_3 Depth=1
	s_or_b64 exec, exec, s[2:3]
	s_waitcnt lgkmcnt(0)
	s_barrier
	ds_read_b64 v[7:8], v10
	s_waitcnt lgkmcnt(0)
	v_add_f32_e32 v5, v5, v7
	v_add_f32_e32 v6, v6, v8
	ds_write_b64 v10, v[5:6]
	v_mov_b32_e32 v6, 0
	v_mov_b32_e32 v8, 0
	;; [unrolled: 1-line block ×3, first 2 shown]
	s_waitcnt lgkmcnt(0)
	s_barrier
	s_and_saveexec_b64 s[2:3], s[22:23]
	s_cbranch_execz .LBB5_17
; %bb.14:                               ;   in Loop: Header=BB5_3 Depth=1
	v_subrev_u32_e32 v5, 32, v9
	ds_read_b64 v[7:8], v9
	ds_read_b64 v[27:28], v5
	s_waitcnt lgkmcnt(0)
	v_cmp_eq_u64_e32 vcc, v[7:8], v[27:28]
	v_mov_b32_e32 v7, 0
	v_mov_b32_e32 v8, 0
	s_and_saveexec_b64 s[8:9], vcc
; %bb.15:                               ;   in Loop: Header=BB5_3 Depth=1
	ds_read_b64 v[7:8], v13
; %bb.16:                               ;   in Loop: Header=BB5_3 Depth=1
	s_or_b64 exec, exec, s[8:9]
.LBB5_17:                               ;   in Loop: Header=BB5_3 Depth=1
	s_or_b64 exec, exec, s[2:3]
	s_waitcnt lgkmcnt(0)
	s_barrier
	ds_read_b64 v[27:28], v10
	v_mov_b32_e32 v5, 0
	s_waitcnt lgkmcnt(0)
	v_add_f32_e32 v7, v7, v27
	v_add_f32_e32 v8, v8, v28
	ds_write_b64 v10, v[7:8]
	s_waitcnt lgkmcnt(0)
	s_barrier
	s_and_saveexec_b64 s[2:3], s[24:25]
	s_cbranch_execz .LBB5_21
; %bb.18:                               ;   in Loop: Header=BB5_3 Depth=1
	v_subrev_u32_e32 v7, 64, v9
	ds_read_b64 v[5:6], v9
	ds_read_b64 v[7:8], v7
	s_waitcnt lgkmcnt(0)
	v_cmp_eq_u64_e32 vcc, v[5:6], v[7:8]
	v_mov_b32_e32 v5, 0
	v_mov_b32_e32 v6, 0
	s_and_saveexec_b64 s[8:9], vcc
; %bb.19:                               ;   in Loop: Header=BB5_3 Depth=1
	ds_read_b64 v[5:6], v14
; %bb.20:                               ;   in Loop: Header=BB5_3 Depth=1
	s_or_b64 exec, exec, s[8:9]
.LBB5_21:                               ;   in Loop: Header=BB5_3 Depth=1
	s_or_b64 exec, exec, s[2:3]
	s_waitcnt lgkmcnt(0)
	s_barrier
	ds_read_b64 v[7:8], v10
	s_waitcnt lgkmcnt(0)
	v_add_f32_e32 v5, v5, v7
	v_add_f32_e32 v6, v6, v8
	ds_write_b64 v10, v[5:6]
	v_mov_b32_e32 v6, 0
	v_mov_b32_e32 v8, 0
	v_mov_b32_e32 v7, 0
	s_waitcnt lgkmcnt(0)
	s_barrier
	s_and_saveexec_b64 s[2:3], s[26:27]
	s_cbranch_execz .LBB5_25
; %bb.22:                               ;   in Loop: Header=BB5_3 Depth=1
	ds_read_b64 v[7:8], v9
	ds_read_b64 v[27:28], v15
	s_waitcnt lgkmcnt(0)
	v_cmp_eq_u64_e32 vcc, v[7:8], v[27:28]
	v_mov_b32_e32 v7, 0
	v_mov_b32_e32 v8, 0
	s_and_saveexec_b64 s[8:9], vcc
; %bb.23:                               ;   in Loop: Header=BB5_3 Depth=1
	ds_read_b64 v[7:8], v16
; %bb.24:                               ;   in Loop: Header=BB5_3 Depth=1
	s_or_b64 exec, exec, s[8:9]
.LBB5_25:                               ;   in Loop: Header=BB5_3 Depth=1
	s_or_b64 exec, exec, s[2:3]
	s_waitcnt lgkmcnt(0)
	s_barrier
	ds_read_b64 v[27:28], v10
	v_mov_b32_e32 v5, 0
	s_waitcnt lgkmcnt(0)
	v_add_f32_e32 v7, v7, v27
	v_add_f32_e32 v8, v8, v28
	ds_write_b64 v10, v[7:8]
	s_waitcnt lgkmcnt(0)
	s_barrier
	s_and_saveexec_b64 s[2:3], s[28:29]
	s_cbranch_execz .LBB5_29
; %bb.26:                               ;   in Loop: Header=BB5_3 Depth=1
	ds_read_b64 v[5:6], v9
	ds_read_b64 v[7:8], v17
	s_waitcnt lgkmcnt(0)
	v_cmp_eq_u64_e32 vcc, v[5:6], v[7:8]
	v_mov_b32_e32 v5, 0
	v_mov_b32_e32 v6, 0
	s_and_saveexec_b64 s[8:9], vcc
; %bb.27:                               ;   in Loop: Header=BB5_3 Depth=1
	ds_read_b64 v[5:6], v18
; %bb.28:                               ;   in Loop: Header=BB5_3 Depth=1
	s_or_b64 exec, exec, s[8:9]
.LBB5_29:                               ;   in Loop: Header=BB5_3 Depth=1
	s_or_b64 exec, exec, s[2:3]
	s_waitcnt lgkmcnt(0)
	s_barrier
	ds_read_b64 v[7:8], v10
	s_waitcnt lgkmcnt(0)
	v_add_f32_e32 v5, v5, v7
	v_add_f32_e32 v6, v6, v8
	ds_write_b64 v10, v[5:6]
	v_mov_b32_e32 v6, 0
	v_mov_b32_e32 v8, 0
	v_mov_b32_e32 v7, 0
	s_waitcnt lgkmcnt(0)
	s_barrier
	s_and_saveexec_b64 s[2:3], s[30:31]
	s_cbranch_execz .LBB5_33
; %bb.30:                               ;   in Loop: Header=BB5_3 Depth=1
	ds_read_b64 v[7:8], v9
	ds_read_b64 v[27:28], v19
	s_waitcnt lgkmcnt(0)
	v_cmp_eq_u64_e32 vcc, v[7:8], v[27:28]
	v_mov_b32_e32 v7, 0
	v_mov_b32_e32 v8, 0
	s_and_saveexec_b64 s[8:9], vcc
; %bb.31:                               ;   in Loop: Header=BB5_3 Depth=1
	ds_read_b64 v[7:8], v20
; %bb.32:                               ;   in Loop: Header=BB5_3 Depth=1
	s_or_b64 exec, exec, s[8:9]
.LBB5_33:                               ;   in Loop: Header=BB5_3 Depth=1
	s_or_b64 exec, exec, s[2:3]
	s_waitcnt lgkmcnt(0)
	s_barrier
	ds_read_b64 v[27:28], v10
	v_mov_b32_e32 v5, 0
	s_waitcnt lgkmcnt(0)
	v_add_f32_e32 v7, v7, v27
	v_add_f32_e32 v8, v8, v28
	ds_write_b64 v10, v[7:8]
	s_waitcnt lgkmcnt(0)
	s_barrier
	s_and_saveexec_b64 s[2:3], s[34:35]
	s_cbranch_execz .LBB5_37
; %bb.34:                               ;   in Loop: Header=BB5_3 Depth=1
	ds_read_b64 v[5:6], v9
	ds_read_b64 v[7:8], v21
	s_waitcnt lgkmcnt(0)
	v_cmp_eq_u64_e32 vcc, v[5:6], v[7:8]
	v_mov_b32_e32 v5, 0
	v_mov_b32_e32 v6, 0
	s_and_saveexec_b64 s[8:9], vcc
; %bb.35:                               ;   in Loop: Header=BB5_3 Depth=1
	ds_read_b64 v[5:6], v22
; %bb.36:                               ;   in Loop: Header=BB5_3 Depth=1
	s_or_b64 exec, exec, s[8:9]
.LBB5_37:                               ;   in Loop: Header=BB5_3 Depth=1
	;; [unrolled: 54-line block ×3, first 2 shown]
	s_or_b64 exec, exec, s[2:3]
	s_waitcnt lgkmcnt(0)
	s_barrier
	ds_read_b64 v[7:8], v10
	s_waitcnt lgkmcnt(0)
	v_add_f32_e32 v5, v5, v7
	v_add_f32_e32 v6, v6, v8
	ds_write_b64 v10, v[5:6]
	s_waitcnt lgkmcnt(0)
	s_barrier
	ds_read_b64 v[5:6], v9
	v_mov_b32_e32 v7, -1
	v_mov_b32_e32 v8, -1
	s_and_saveexec_b64 s[2:3], s[0:1]
; %bb.46:                               ;   in Loop: Header=BB5_3 Depth=1
	ds_read_b64 v[7:8], v9 offset:8
; %bb.47:                               ;   in Loop: Header=BB5_3 Depth=1
	s_or_b64 exec, exec, s[2:3]
	s_waitcnt lgkmcnt(0)
	v_cmp_ne_u64_e32 vcc, v[5:6], v[7:8]
	v_cmp_lt_i64_e64 s[2:3], -1, v[5:6]
	s_and_b64 s[8:9], s[2:3], vcc
	s_and_saveexec_b64 s[2:3], s[8:9]
	s_cbranch_execz .LBB5_2
; %bb.48:                               ;   in Loop: Header=BB5_3 Depth=1
	s_mov_b64 s[8:9], -1
	s_and_b64 vcc, exec, s[40:41]
	s_cbranch_vccz .LBB5_50
; %bb.49:                               ;   in Loop: Header=BB5_3 Depth=1
	v_mul_lo_u32 v27, v6, s14
	v_mul_lo_u32 v28, v5, s15
	v_mad_u64_u32 v[7:8], s[8:9], v5, s14, 0
	ds_read_b64 v[29:30], v10
	s_mov_b64 s[8:9], 0
	v_add3_u32 v8, v8, v28, v27
	v_lshlrev_b64 v[7:8], 3, v[7:8]
	v_mov_b32_e32 v27, s44
	v_add_co_u32_e32 v7, vcc, s33, v7
	v_addc_co_u32_e32 v8, vcc, v27, v8, vcc
	global_load_dwordx2 v[27:28], v[7:8], off
	s_waitcnt vmcnt(0) lgkmcnt(0)
	v_add_f32_e32 v27, v29, v27
	v_add_f32_e32 v28, v30, v28
	global_store_dwordx2 v[7:8], v[27:28], off
.LBB5_50:                               ;   in Loop: Header=BB5_3 Depth=1
	s_andn2_b64 vcc, exec, s[8:9]
	s_cbranch_vccnz .LBB5_2
; %bb.51:                               ;   in Loop: Header=BB5_3 Depth=1
	v_lshlrev_b64 v[5:6], 3, v[5:6]
	v_mov_b32_e32 v7, s13
	v_add_co_u32_e32 v5, vcc, s12, v5
	v_addc_co_u32_e32 v6, vcc, v7, v6, vcc
	global_load_dwordx2 v[7:8], v[5:6], off
	ds_read_b64 v[27:28], v10
	s_waitcnt vmcnt(0) lgkmcnt(0)
	v_add_f32_e32 v7, v27, v7
	v_add_f32_e32 v8, v28, v8
	global_store_dwordx2 v[5:6], v[7:8], off
	s_branch .LBB5_2
.LBB5_52:
	s_endpgm
	.section	.rodata,"a",@progbits
	.p2align	6, 0x0
	.amdhsa_kernel _ZN9rocsparseL28coommnn_general_block_reduceILj1024E21rocsparse_complex_numIfElS2_EEvT1_S3_PKS3_PKT0_PT2_ll16rocsparse_order_
		.amdhsa_group_segment_fixed_size 16384
		.amdhsa_private_segment_fixed_size 0
		.amdhsa_kernarg_size 60
		.amdhsa_user_sgpr_count 6
		.amdhsa_user_sgpr_private_segment_buffer 1
		.amdhsa_user_sgpr_dispatch_ptr 0
		.amdhsa_user_sgpr_queue_ptr 0
		.amdhsa_user_sgpr_kernarg_segment_ptr 1
		.amdhsa_user_sgpr_dispatch_id 0
		.amdhsa_user_sgpr_flat_scratch_init 0
		.amdhsa_user_sgpr_private_segment_size 0
		.amdhsa_uses_dynamic_stack 0
		.amdhsa_system_sgpr_private_segment_wavefront_offset 0
		.amdhsa_system_sgpr_workgroup_id_x 1
		.amdhsa_system_sgpr_workgroup_id_y 0
		.amdhsa_system_sgpr_workgroup_id_z 1
		.amdhsa_system_sgpr_workgroup_info 0
		.amdhsa_system_vgpr_workitem_id 0
		.amdhsa_next_free_vgpr 31
		.amdhsa_next_free_sgpr 61
		.amdhsa_reserve_vcc 1
		.amdhsa_reserve_flat_scratch 0
		.amdhsa_float_round_mode_32 0
		.amdhsa_float_round_mode_16_64 0
		.amdhsa_float_denorm_mode_32 3
		.amdhsa_float_denorm_mode_16_64 3
		.amdhsa_dx10_clamp 1
		.amdhsa_ieee_mode 1
		.amdhsa_fp16_overflow 0
		.amdhsa_exception_fp_ieee_invalid_op 0
		.amdhsa_exception_fp_denorm_src 0
		.amdhsa_exception_fp_ieee_div_zero 0
		.amdhsa_exception_fp_ieee_overflow 0
		.amdhsa_exception_fp_ieee_underflow 0
		.amdhsa_exception_fp_ieee_inexact 0
		.amdhsa_exception_int_div_zero 0
	.end_amdhsa_kernel
	.section	.text._ZN9rocsparseL28coommnn_general_block_reduceILj1024E21rocsparse_complex_numIfElS2_EEvT1_S3_PKS3_PKT0_PT2_ll16rocsparse_order_,"axG",@progbits,_ZN9rocsparseL28coommnn_general_block_reduceILj1024E21rocsparse_complex_numIfElS2_EEvT1_S3_PKS3_PKT0_PT2_ll16rocsparse_order_,comdat
.Lfunc_end5:
	.size	_ZN9rocsparseL28coommnn_general_block_reduceILj1024E21rocsparse_complex_numIfElS2_EEvT1_S3_PKS3_PKT0_PT2_ll16rocsparse_order_, .Lfunc_end5-_ZN9rocsparseL28coommnn_general_block_reduceILj1024E21rocsparse_complex_numIfElS2_EEvT1_S3_PKS3_PKT0_PT2_ll16rocsparse_order_
                                        ; -- End function
	.set _ZN9rocsparseL28coommnn_general_block_reduceILj1024E21rocsparse_complex_numIfElS2_EEvT1_S3_PKS3_PKT0_PT2_ll16rocsparse_order_.num_vgpr, 31
	.set _ZN9rocsparseL28coommnn_general_block_reduceILj1024E21rocsparse_complex_numIfElS2_EEvT1_S3_PKS3_PKT0_PT2_ll16rocsparse_order_.num_agpr, 0
	.set _ZN9rocsparseL28coommnn_general_block_reduceILj1024E21rocsparse_complex_numIfElS2_EEvT1_S3_PKS3_PKT0_PT2_ll16rocsparse_order_.numbered_sgpr, 50
	.set _ZN9rocsparseL28coommnn_general_block_reduceILj1024E21rocsparse_complex_numIfElS2_EEvT1_S3_PKS3_PKT0_PT2_ll16rocsparse_order_.num_named_barrier, 0
	.set _ZN9rocsparseL28coommnn_general_block_reduceILj1024E21rocsparse_complex_numIfElS2_EEvT1_S3_PKS3_PKT0_PT2_ll16rocsparse_order_.private_seg_size, 0
	.set _ZN9rocsparseL28coommnn_general_block_reduceILj1024E21rocsparse_complex_numIfElS2_EEvT1_S3_PKS3_PKT0_PT2_ll16rocsparse_order_.uses_vcc, 1
	.set _ZN9rocsparseL28coommnn_general_block_reduceILj1024E21rocsparse_complex_numIfElS2_EEvT1_S3_PKS3_PKT0_PT2_ll16rocsparse_order_.uses_flat_scratch, 0
	.set _ZN9rocsparseL28coommnn_general_block_reduceILj1024E21rocsparse_complex_numIfElS2_EEvT1_S3_PKS3_PKT0_PT2_ll16rocsparse_order_.has_dyn_sized_stack, 0
	.set _ZN9rocsparseL28coommnn_general_block_reduceILj1024E21rocsparse_complex_numIfElS2_EEvT1_S3_PKS3_PKT0_PT2_ll16rocsparse_order_.has_recursion, 0
	.set _ZN9rocsparseL28coommnn_general_block_reduceILj1024E21rocsparse_complex_numIfElS2_EEvT1_S3_PKS3_PKT0_PT2_ll16rocsparse_order_.has_indirect_call, 0
	.section	.AMDGPU.csdata,"",@progbits
; Kernel info:
; codeLenInByte = 2084
; TotalNumSgprs: 54
; NumVgprs: 31
; ScratchSize: 0
; MemoryBound: 0
; FloatMode: 240
; IeeeMode: 1
; LDSByteSize: 16384 bytes/workgroup (compile time only)
; SGPRBlocks: 8
; VGPRBlocks: 7
; NumSGPRsForWavesPerEU: 65
; NumVGPRsForWavesPerEU: 31
; Occupancy: 8
; WaveLimiterHint : 0
; COMPUTE_PGM_RSRC2:SCRATCH_EN: 0
; COMPUTE_PGM_RSRC2:USER_SGPR: 6
; COMPUTE_PGM_RSRC2:TRAP_HANDLER: 0
; COMPUTE_PGM_RSRC2:TGID_X_EN: 1
; COMPUTE_PGM_RSRC2:TGID_Y_EN: 0
; COMPUTE_PGM_RSRC2:TGID_Z_EN: 1
; COMPUTE_PGM_RSRC2:TIDIG_COMP_CNT: 0
	.section	.text._ZN9rocsparseL28coommnn_general_block_reduceILj1024E21rocsparse_complex_numIdEiS2_EEvT1_S3_PKS3_PKT0_PT2_ll16rocsparse_order_,"axG",@progbits,_ZN9rocsparseL28coommnn_general_block_reduceILj1024E21rocsparse_complex_numIdEiS2_EEvT1_S3_PKS3_PKT0_PT2_ll16rocsparse_order_,comdat
	.globl	_ZN9rocsparseL28coommnn_general_block_reduceILj1024E21rocsparse_complex_numIdEiS2_EEvT1_S3_PKS3_PKT0_PT2_ll16rocsparse_order_ ; -- Begin function _ZN9rocsparseL28coommnn_general_block_reduceILj1024E21rocsparse_complex_numIdEiS2_EEvT1_S3_PKS3_PKT0_PT2_ll16rocsparse_order_
	.p2align	8
	.type	_ZN9rocsparseL28coommnn_general_block_reduceILj1024E21rocsparse_complex_numIdEiS2_EEvT1_S3_PKS3_PKT0_PT2_ll16rocsparse_order_,@function
_ZN9rocsparseL28coommnn_general_block_reduceILj1024E21rocsparse_complex_numIdEiS2_EEvT1_S3_PKS3_PKT0_PT2_ll16rocsparse_order_: ; @_ZN9rocsparseL28coommnn_general_block_reduceILj1024E21rocsparse_complex_numIdEiS2_EEvT1_S3_PKS3_PKT0_PT2_ll16rocsparse_order_
; %bb.0:
	s_load_dwordx2 s[16:17], s[4:5], 0x0
	s_waitcnt lgkmcnt(0)
	s_cmp_lt_i32 s17, 1
	s_cbranch_scc1 .LBB6_52
; %bb.1:
	v_mov_b32_e32 v1, 0x4000
	v_subrev_co_u32_e32 v2, vcc, 1, v0
	s_load_dwordx8 s[8:15], s[4:5], 0x8
	s_load_dwordx2 s[2:3], s[4:5], 0x28
	s_load_dword s33, s[4:5], 0x30
	s_xor_b64 s[4:5], vcc, -1
	v_lshl_add_u32 v12, v2, 2, v1
	v_subrev_co_u32_e32 v2, vcc, 2, v0
	s_xor_b64 s[18:19], vcc, -1
	v_lshl_add_u32 v13, v2, 2, v1
	v_subrev_co_u32_e32 v2, vcc, 4, v0
	;; [unrolled: 3-line block ×3, first 2 shown]
	s_mul_i32 s0, s16, s7
	s_xor_b64 s[22:23], vcc, -1
	v_lshl_add_u32 v15, v2, 2, v1
	v_subrev_co_u32_e32 v2, vcc, 16, v0
	s_add_i32 s0, s0, s6
	s_xor_b64 s[24:25], vcc, -1
	v_lshl_add_u32 v17, v2, 2, v1
	v_subrev_co_u32_e32 v2, vcc, 32, v0
	s_mul_i32 s43, s0, s17
	s_xor_b64 s[26:27], vcc, -1
	v_lshl_add_u32 v19, v2, 2, v1
	v_subrev_co_u32_e32 v2, vcc, 64, v0
	s_movk_i32 s0, 0x80
	s_xor_b64 s[28:29], vcc, -1
	v_lshl_add_u32 v21, v2, 2, v1
	v_subrev_co_u32_e32 v2, vcc, s0, v0
	s_movk_i32 s0, 0x100
	;; [unrolled: 4-line block ×3, first 2 shown]
	s_xor_b64 s[34:35], vcc, -1
	v_lshl_add_u32 v25, v2, 2, v1
	v_subrev_co_u32_e32 v2, vcc, s0, v0
	s_xor_b64 s[36:37], vcc, -1
	s_waitcnt lgkmcnt(0)
	s_cmp_lg_u32 s33, 1
	s_mov_b32 s16, s7
	s_cselect_b64 s[38:39], -1, 0
	s_ashr_i32 s33, s16, 31
	s_mul_hi_u32 s40, s2, s16
	s_mul_i32 s33, s2, s33
	s_mul_i32 s42, s17, s7
	s_ashr_i32 s7, s6, 31
	s_add_i32 s33, s40, s33
	s_mul_i32 s3, s3, s16
	s_add_i32 s3, s33, s3
	s_lshl_b64 s[40:41], s[6:7], 4
	s_mul_i32 s2, s2, s16
	s_add_u32 s16, s12, s40
	s_addc_u32 s33, s13, s41
	s_lshl_b64 s[2:3], s[2:3], 4
	s_add_u32 s16, s16, s2
	s_mul_hi_u32 s40, s14, s6
	s_mul_i32 s7, s14, s7
	s_addc_u32 s33, s33, s3
	s_add_i32 s7, s40, s7
	s_mul_i32 s40, s15, s6
	s_add_i32 s7, s7, s40
	s_mul_i32 s6, s14, s6
	s_lshl_b64 s[6:7], s[6:7], 4
	s_add_u32 s6, s12, s6
	s_addc_u32 s7, s13, s7
	v_lshlrev_b32_e32 v11, 4, v0
	s_movk_i32 s0, 0x3ff
	s_add_u32 s12, s6, s2
	v_lshl_or_b32 v10, v0, 2, v1
	v_add_u32_e32 v16, 0xffffff80, v11
	v_add_u32_e32 v18, 0xffffff00, v11
	;; [unrolled: 1-line block ×6, first 2 shown]
	v_lshl_add_u32 v27, v2, 2, v1
	v_add_u32_e32 v28, 0xffffe000, v11
	v_cmp_ne_u32_e64 s[0:1], s0, v0
	s_addc_u32 s13, s7, s3
	v_add_u32_e32 v29, s42, v0
	v_add_u32_e32 v30, s43, v0
	s_mov_b32 s40, 0
	v_mov_b32_e32 v9, 0
	s_branch .LBB6_3
.LBB6_2:                                ;   in Loop: Header=BB6_3 Depth=1
	s_or_b64 exec, exec, s[2:3]
	s_addk_i32 s40, 0x400
	s_cmp_ge_i32 s40, s17
	s_waitcnt vmcnt(0)
	s_barrier
	s_cbranch_scc1 .LBB6_52
.LBB6_3:                                ; =>This Inner Loop Header: Depth=1
	v_add_u32_e32 v1, s40, v0
	v_mov_b32_e32 v3, 0
	v_mov_b32_e32 v7, 0
	;; [unrolled: 1-line block ×3, first 2 shown]
	v_cmp_gt_i32_e32 vcc, s17, v1
	v_mov_b32_e32 v4, 0
	v_mov_b32_e32 v8, 0
	;; [unrolled: 1-line block ×3, first 2 shown]
	v_mov_b32_e32 v1, -1
	s_and_saveexec_b64 s[2:3], vcc
	s_cbranch_execz .LBB6_5
; %bb.4:                                ;   in Loop: Header=BB6_3 Depth=1
	v_add_u32_e32 v1, s40, v29
	v_ashrrev_i32_e32 v2, 31, v1
	v_lshlrev_b64 v[1:2], 2, v[1:2]
	v_mov_b32_e32 v5, s9
	v_add_co_u32_e32 v1, vcc, s8, v1
	v_addc_co_u32_e32 v2, vcc, v5, v2, vcc
	v_add_u32_e32 v5, s40, v30
	v_ashrrev_i32_e32 v6, 31, v5
	v_lshlrev_b64 v[5:6], 4, v[5:6]
	global_load_dword v1, v[1:2], off
	v_mov_b32_e32 v2, s11
	v_add_co_u32_e32 v5, vcc, s10, v5
	v_addc_co_u32_e32 v6, vcc, v2, v6, vcc
	global_load_dwordx4 v[5:8], v[5:6], off
.LBB6_5:                                ;   in Loop: Header=BB6_3 Depth=1
	s_or_b64 exec, exec, s[2:3]
	s_waitcnt vmcnt(1)
	ds_write_b32 v10, v1
	s_waitcnt vmcnt(0)
	ds_write_b128 v11, v[5:8]
	v_mov_b32_e32 v1, 0
	v_mov_b32_e32 v2, 0
	s_waitcnt lgkmcnt(0)
	s_barrier
	s_and_saveexec_b64 s[2:3], s[4:5]
	s_cbranch_execz .LBB6_9
; %bb.6:                                ;   in Loop: Header=BB6_3 Depth=1
	ds_read2_b32 v[5:6], v12 offset1:1
	v_mov_b32_e32 v1, 0
	v_mov_b32_e32 v3, 0
	;; [unrolled: 1-line block ×4, first 2 shown]
	s_waitcnt lgkmcnt(0)
	v_cmp_eq_u32_e32 vcc, v6, v5
	s_and_saveexec_b64 s[6:7], vcc
; %bb.7:                                ;   in Loop: Header=BB6_3 Depth=1
	v_add_u32_e32 v1, -16, v11
	ds_read_b128 v[1:4], v1
; %bb.8:                                ;   in Loop: Header=BB6_3 Depth=1
	s_or_b64 exec, exec, s[6:7]
.LBB6_9:                                ;   in Loop: Header=BB6_3 Depth=1
	s_or_b64 exec, exec, s[2:3]
	s_waitcnt lgkmcnt(0)
	s_barrier
	ds_read_b128 v[5:8], v11
	s_waitcnt lgkmcnt(0)
	v_add_f64 v[31:32], v[1:2], v[5:6]
	v_add_f64 v[33:34], v[3:4], v[7:8]
	v_mov_b32_e32 v3, 0
	v_mov_b32_e32 v7, 0
	;; [unrolled: 1-line block ×6, first 2 shown]
	ds_write_b128 v11, v[31:34]
	s_waitcnt lgkmcnt(0)
	s_barrier
	s_and_saveexec_b64 s[2:3], s[18:19]
	s_cbranch_execz .LBB6_13
; %bb.10:                               ;   in Loop: Header=BB6_3 Depth=1
	ds_read_b32 v1, v10
	ds_read_b32 v2, v13
	v_mov_b32_e32 v5, 0
	v_mov_b32_e32 v7, 0
	;; [unrolled: 1-line block ×4, first 2 shown]
	s_waitcnt lgkmcnt(0)
	v_cmp_eq_u32_e32 vcc, v1, v2
	s_and_saveexec_b64 s[6:7], vcc
; %bb.11:                               ;   in Loop: Header=BB6_3 Depth=1
	v_subrev_u32_e32 v1, 32, v11
	ds_read_b128 v[5:8], v1
; %bb.12:                               ;   in Loop: Header=BB6_3 Depth=1
	s_or_b64 exec, exec, s[6:7]
.LBB6_13:                               ;   in Loop: Header=BB6_3 Depth=1
	s_or_b64 exec, exec, s[2:3]
	s_waitcnt lgkmcnt(0)
	s_barrier
	ds_read_b128 v[31:34], v11
	v_mov_b32_e32 v1, 0
	v_mov_b32_e32 v2, 0
	s_waitcnt lgkmcnt(0)
	v_add_f64 v[5:6], v[5:6], v[31:32]
	v_add_f64 v[7:8], v[7:8], v[33:34]
	ds_write_b128 v11, v[5:8]
	s_waitcnt lgkmcnt(0)
	s_barrier
	s_and_saveexec_b64 s[2:3], s[20:21]
	s_cbranch_execz .LBB6_17
; %bb.14:                               ;   in Loop: Header=BB6_3 Depth=1
	ds_read_b32 v5, v10
	ds_read_b32 v6, v14
	v_mov_b32_e32 v1, 0
	v_mov_b32_e32 v3, 0
	;; [unrolled: 1-line block ×4, first 2 shown]
	s_waitcnt lgkmcnt(0)
	v_cmp_eq_u32_e32 vcc, v5, v6
	s_and_saveexec_b64 s[6:7], vcc
; %bb.15:                               ;   in Loop: Header=BB6_3 Depth=1
	v_subrev_u32_e32 v1, 64, v11
	ds_read_b128 v[1:4], v1
; %bb.16:                               ;   in Loop: Header=BB6_3 Depth=1
	s_or_b64 exec, exec, s[6:7]
.LBB6_17:                               ;   in Loop: Header=BB6_3 Depth=1
	s_or_b64 exec, exec, s[2:3]
	s_waitcnt lgkmcnt(0)
	s_barrier
	ds_read_b128 v[5:8], v11
	s_waitcnt lgkmcnt(0)
	v_add_f64 v[31:32], v[1:2], v[5:6]
	v_add_f64 v[33:34], v[3:4], v[7:8]
	v_mov_b32_e32 v3, 0
	v_mov_b32_e32 v7, 0
	v_mov_b32_e32 v5, 0
	v_mov_b32_e32 v4, 0
	v_mov_b32_e32 v8, 0
	v_mov_b32_e32 v6, 0
	ds_write_b128 v11, v[31:34]
	s_waitcnt lgkmcnt(0)
	s_barrier
	s_and_saveexec_b64 s[2:3], s[22:23]
	s_cbranch_execz .LBB6_21
; %bb.18:                               ;   in Loop: Header=BB6_3 Depth=1
	ds_read_b32 v1, v10
	ds_read_b32 v2, v15
	v_mov_b32_e32 v5, 0
	v_mov_b32_e32 v7, 0
	v_mov_b32_e32 v6, 0
	v_mov_b32_e32 v8, 0
	s_waitcnt lgkmcnt(0)
	v_cmp_eq_u32_e32 vcc, v1, v2
	s_and_saveexec_b64 s[6:7], vcc
; %bb.19:                               ;   in Loop: Header=BB6_3 Depth=1
	ds_read_b128 v[5:8], v16
; %bb.20:                               ;   in Loop: Header=BB6_3 Depth=1
	s_or_b64 exec, exec, s[6:7]
.LBB6_21:                               ;   in Loop: Header=BB6_3 Depth=1
	s_or_b64 exec, exec, s[2:3]
	s_waitcnt lgkmcnt(0)
	s_barrier
	ds_read_b128 v[31:34], v11
	v_mov_b32_e32 v1, 0
	v_mov_b32_e32 v2, 0
	s_waitcnt lgkmcnt(0)
	v_add_f64 v[5:6], v[5:6], v[31:32]
	v_add_f64 v[7:8], v[7:8], v[33:34]
	ds_write_b128 v11, v[5:8]
	s_waitcnt lgkmcnt(0)
	s_barrier
	s_and_saveexec_b64 s[2:3], s[24:25]
	s_cbranch_execz .LBB6_25
; %bb.22:                               ;   in Loop: Header=BB6_3 Depth=1
	ds_read_b32 v5, v10
	ds_read_b32 v6, v17
	v_mov_b32_e32 v1, 0
	v_mov_b32_e32 v3, 0
	v_mov_b32_e32 v2, 0
	v_mov_b32_e32 v4, 0
	s_waitcnt lgkmcnt(0)
	v_cmp_eq_u32_e32 vcc, v5, v6
	s_and_saveexec_b64 s[6:7], vcc
; %bb.23:                               ;   in Loop: Header=BB6_3 Depth=1
	ds_read_b128 v[1:4], v18
; %bb.24:                               ;   in Loop: Header=BB6_3 Depth=1
	s_or_b64 exec, exec, s[6:7]
.LBB6_25:                               ;   in Loop: Header=BB6_3 Depth=1
	s_or_b64 exec, exec, s[2:3]
	s_waitcnt lgkmcnt(0)
	s_barrier
	ds_read_b128 v[5:8], v11
	s_waitcnt lgkmcnt(0)
	v_add_f64 v[31:32], v[1:2], v[5:6]
	v_add_f64 v[33:34], v[3:4], v[7:8]
	v_mov_b32_e32 v3, 0
	v_mov_b32_e32 v7, 0
	v_mov_b32_e32 v5, 0
	v_mov_b32_e32 v4, 0
	v_mov_b32_e32 v8, 0
	v_mov_b32_e32 v6, 0
	ds_write_b128 v11, v[31:34]
	s_waitcnt lgkmcnt(0)
	s_barrier
	s_and_saveexec_b64 s[2:3], s[26:27]
	s_cbranch_execz .LBB6_29
; %bb.26:                               ;   in Loop: Header=BB6_3 Depth=1
	ds_read_b32 v1, v10
	ds_read_b32 v2, v19
	v_mov_b32_e32 v5, 0
	v_mov_b32_e32 v7, 0
	v_mov_b32_e32 v6, 0
	v_mov_b32_e32 v8, 0
	s_waitcnt lgkmcnt(0)
	v_cmp_eq_u32_e32 vcc, v1, v2
	s_and_saveexec_b64 s[6:7], vcc
; %bb.27:                               ;   in Loop: Header=BB6_3 Depth=1
	ds_read_b128 v[5:8], v20
; %bb.28:                               ;   in Loop: Header=BB6_3 Depth=1
	s_or_b64 exec, exec, s[6:7]
.LBB6_29:                               ;   in Loop: Header=BB6_3 Depth=1
	s_or_b64 exec, exec, s[2:3]
	s_waitcnt lgkmcnt(0)
	s_barrier
	ds_read_b128 v[31:34], v11
	v_mov_b32_e32 v1, 0
	v_mov_b32_e32 v2, 0
	s_waitcnt lgkmcnt(0)
	v_add_f64 v[5:6], v[5:6], v[31:32]
	v_add_f64 v[7:8], v[7:8], v[33:34]
	ds_write_b128 v11, v[5:8]
	s_waitcnt lgkmcnt(0)
	s_barrier
	s_and_saveexec_b64 s[2:3], s[28:29]
	s_cbranch_execz .LBB6_33
; %bb.30:                               ;   in Loop: Header=BB6_3 Depth=1
	ds_read_b32 v5, v10
	ds_read_b32 v6, v21
	v_mov_b32_e32 v1, 0
	v_mov_b32_e32 v3, 0
	v_mov_b32_e32 v2, 0
	v_mov_b32_e32 v4, 0
	s_waitcnt lgkmcnt(0)
	v_cmp_eq_u32_e32 vcc, v5, v6
	s_and_saveexec_b64 s[6:7], vcc
; %bb.31:                               ;   in Loop: Header=BB6_3 Depth=1
	ds_read_b128 v[1:4], v22
; %bb.32:                               ;   in Loop: Header=BB6_3 Depth=1
	s_or_b64 exec, exec, s[6:7]
.LBB6_33:                               ;   in Loop: Header=BB6_3 Depth=1
	;; [unrolled: 62-line block ×3, first 2 shown]
	s_or_b64 exec, exec, s[2:3]
	s_waitcnt lgkmcnt(0)
	s_barrier
	ds_read_b128 v[5:8], v11
	s_waitcnt lgkmcnt(0)
	v_add_f64 v[5:6], v[1:2], v[5:6]
	v_add_f64 v[7:8], v[3:4], v[7:8]
	v_mov_b32_e32 v3, 0
	v_mov_b32_e32 v1, 0
	;; [unrolled: 1-line block ×4, first 2 shown]
	ds_write_b128 v11, v[5:8]
	s_waitcnt lgkmcnt(0)
	s_barrier
	s_and_saveexec_b64 s[2:3], s[36:37]
	s_cbranch_execz .LBB6_45
; %bb.42:                               ;   in Loop: Header=BB6_3 Depth=1
	ds_read_b32 v5, v10
	ds_read_b32 v6, v27
	v_mov_b32_e32 v1, 0
	v_mov_b32_e32 v3, 0
	;; [unrolled: 1-line block ×4, first 2 shown]
	s_waitcnt lgkmcnt(0)
	v_cmp_eq_u32_e32 vcc, v5, v6
	s_and_saveexec_b64 s[6:7], vcc
; %bb.43:                               ;   in Loop: Header=BB6_3 Depth=1
	ds_read_b128 v[1:4], v28
; %bb.44:                               ;   in Loop: Header=BB6_3 Depth=1
	s_or_b64 exec, exec, s[6:7]
.LBB6_45:                               ;   in Loop: Header=BB6_3 Depth=1
	s_or_b64 exec, exec, s[2:3]
	s_waitcnt lgkmcnt(0)
	s_barrier
	ds_read_b128 v[5:8], v11
	s_waitcnt lgkmcnt(0)
	v_add_f64 v[1:2], v[1:2], v[5:6]
	v_add_f64 v[3:4], v[3:4], v[7:8]
	ds_write_b128 v11, v[1:4]
	s_waitcnt lgkmcnt(0)
	s_barrier
	ds_read_b32 v8, v10
	v_mov_b32_e32 v1, -1
	s_and_saveexec_b64 s[2:3], s[0:1]
; %bb.46:                               ;   in Loop: Header=BB6_3 Depth=1
	ds_read_b32 v1, v10 offset:4
; %bb.47:                               ;   in Loop: Header=BB6_3 Depth=1
	s_or_b64 exec, exec, s[2:3]
	s_waitcnt lgkmcnt(0)
	v_cmp_ne_u32_e32 vcc, v8, v1
	v_cmp_lt_i32_e64 s[2:3], -1, v8
	s_and_b64 s[6:7], s[2:3], vcc
	s_and_saveexec_b64 s[2:3], s[6:7]
	s_cbranch_execz .LBB6_2
; %bb.48:                               ;   in Loop: Header=BB6_3 Depth=1
	s_mov_b64 s[6:7], -1
	s_and_b64 vcc, exec, s[38:39]
	s_cbranch_vccz .LBB6_50
; %bb.49:                               ;   in Loop: Header=BB6_3 Depth=1
	v_mad_u64_u32 v[1:2], s[6:7], s14, v8, 0
	ds_read_b128 v[31:34], v11
	v_mad_u64_u32 v[2:3], s[6:7], s15, v8, v[2:3]
	v_mov_b32_e32 v3, s33
	s_mov_b64 s[6:7], 0
	v_lshlrev_b64 v[1:2], 4, v[1:2]
	v_add_co_u32_e32 v5, vcc, s16, v1
	v_addc_co_u32_e32 v6, vcc, v3, v2, vcc
	global_load_dwordx4 v[1:4], v[5:6], off
	s_waitcnt vmcnt(0) lgkmcnt(0)
	v_add_f64 v[1:2], v[31:32], v[1:2]
	v_add_f64 v[3:4], v[33:34], v[3:4]
	global_store_dwordx4 v[5:6], v[1:4], off
.LBB6_50:                               ;   in Loop: Header=BB6_3 Depth=1
	s_andn2_b64 vcc, exec, s[6:7]
	s_cbranch_vccnz .LBB6_2
; %bb.51:                               ;   in Loop: Header=BB6_3 Depth=1
	v_lshlrev_b64 v[1:2], 4, v[8:9]
	v_mov_b32_e32 v3, s13
	v_add_co_u32_e32 v31, vcc, s12, v1
	v_addc_co_u32_e32 v32, vcc, v3, v2, vcc
	global_load_dwordx4 v[1:4], v[31:32], off
	ds_read_b128 v[5:8], v11
	s_waitcnt vmcnt(0) lgkmcnt(0)
	v_add_f64 v[1:2], v[5:6], v[1:2]
	v_add_f64 v[3:4], v[7:8], v[3:4]
	global_store_dwordx4 v[31:32], v[1:4], off
	s_branch .LBB6_2
.LBB6_52:
	s_endpgm
	.section	.rodata,"a",@progbits
	.p2align	6, 0x0
	.amdhsa_kernel _ZN9rocsparseL28coommnn_general_block_reduceILj1024E21rocsparse_complex_numIdEiS2_EEvT1_S3_PKS3_PKT0_PT2_ll16rocsparse_order_
		.amdhsa_group_segment_fixed_size 20480
		.amdhsa_private_segment_fixed_size 0
		.amdhsa_kernarg_size 52
		.amdhsa_user_sgpr_count 6
		.amdhsa_user_sgpr_private_segment_buffer 1
		.amdhsa_user_sgpr_dispatch_ptr 0
		.amdhsa_user_sgpr_queue_ptr 0
		.amdhsa_user_sgpr_kernarg_segment_ptr 1
		.amdhsa_user_sgpr_dispatch_id 0
		.amdhsa_user_sgpr_flat_scratch_init 0
		.amdhsa_user_sgpr_private_segment_size 0
		.amdhsa_uses_dynamic_stack 0
		.amdhsa_system_sgpr_private_segment_wavefront_offset 0
		.amdhsa_system_sgpr_workgroup_id_x 1
		.amdhsa_system_sgpr_workgroup_id_y 0
		.amdhsa_system_sgpr_workgroup_id_z 1
		.amdhsa_system_sgpr_workgroup_info 0
		.amdhsa_system_vgpr_workitem_id 0
		.amdhsa_next_free_vgpr 35
		.amdhsa_next_free_sgpr 61
		.amdhsa_reserve_vcc 1
		.amdhsa_reserve_flat_scratch 0
		.amdhsa_float_round_mode_32 0
		.amdhsa_float_round_mode_16_64 0
		.amdhsa_float_denorm_mode_32 3
		.amdhsa_float_denorm_mode_16_64 3
		.amdhsa_dx10_clamp 1
		.amdhsa_ieee_mode 1
		.amdhsa_fp16_overflow 0
		.amdhsa_exception_fp_ieee_invalid_op 0
		.amdhsa_exception_fp_denorm_src 0
		.amdhsa_exception_fp_ieee_div_zero 0
		.amdhsa_exception_fp_ieee_overflow 0
		.amdhsa_exception_fp_ieee_underflow 0
		.amdhsa_exception_fp_ieee_inexact 0
		.amdhsa_exception_int_div_zero 0
	.end_amdhsa_kernel
	.section	.text._ZN9rocsparseL28coommnn_general_block_reduceILj1024E21rocsparse_complex_numIdEiS2_EEvT1_S3_PKS3_PKT0_PT2_ll16rocsparse_order_,"axG",@progbits,_ZN9rocsparseL28coommnn_general_block_reduceILj1024E21rocsparse_complex_numIdEiS2_EEvT1_S3_PKS3_PKT0_PT2_ll16rocsparse_order_,comdat
.Lfunc_end6:
	.size	_ZN9rocsparseL28coommnn_general_block_reduceILj1024E21rocsparse_complex_numIdEiS2_EEvT1_S3_PKS3_PKT0_PT2_ll16rocsparse_order_, .Lfunc_end6-_ZN9rocsparseL28coommnn_general_block_reduceILj1024E21rocsparse_complex_numIdEiS2_EEvT1_S3_PKS3_PKT0_PT2_ll16rocsparse_order_
                                        ; -- End function
	.set _ZN9rocsparseL28coommnn_general_block_reduceILj1024E21rocsparse_complex_numIdEiS2_EEvT1_S3_PKS3_PKT0_PT2_ll16rocsparse_order_.num_vgpr, 35
	.set _ZN9rocsparseL28coommnn_general_block_reduceILj1024E21rocsparse_complex_numIdEiS2_EEvT1_S3_PKS3_PKT0_PT2_ll16rocsparse_order_.num_agpr, 0
	.set _ZN9rocsparseL28coommnn_general_block_reduceILj1024E21rocsparse_complex_numIdEiS2_EEvT1_S3_PKS3_PKT0_PT2_ll16rocsparse_order_.numbered_sgpr, 44
	.set _ZN9rocsparseL28coommnn_general_block_reduceILj1024E21rocsparse_complex_numIdEiS2_EEvT1_S3_PKS3_PKT0_PT2_ll16rocsparse_order_.num_named_barrier, 0
	.set _ZN9rocsparseL28coommnn_general_block_reduceILj1024E21rocsparse_complex_numIdEiS2_EEvT1_S3_PKS3_PKT0_PT2_ll16rocsparse_order_.private_seg_size, 0
	.set _ZN9rocsparseL28coommnn_general_block_reduceILj1024E21rocsparse_complex_numIdEiS2_EEvT1_S3_PKS3_PKT0_PT2_ll16rocsparse_order_.uses_vcc, 1
	.set _ZN9rocsparseL28coommnn_general_block_reduceILj1024E21rocsparse_complex_numIdEiS2_EEvT1_S3_PKS3_PKT0_PT2_ll16rocsparse_order_.uses_flat_scratch, 0
	.set _ZN9rocsparseL28coommnn_general_block_reduceILj1024E21rocsparse_complex_numIdEiS2_EEvT1_S3_PKS3_PKT0_PT2_ll16rocsparse_order_.has_dyn_sized_stack, 0
	.set _ZN9rocsparseL28coommnn_general_block_reduceILj1024E21rocsparse_complex_numIdEiS2_EEvT1_S3_PKS3_PKT0_PT2_ll16rocsparse_order_.has_recursion, 0
	.set _ZN9rocsparseL28coommnn_general_block_reduceILj1024E21rocsparse_complex_numIdEiS2_EEvT1_S3_PKS3_PKT0_PT2_ll16rocsparse_order_.has_indirect_call, 0
	.section	.AMDGPU.csdata,"",@progbits
; Kernel info:
; codeLenInByte = 2220
; TotalNumSgprs: 48
; NumVgprs: 35
; ScratchSize: 0
; MemoryBound: 0
; FloatMode: 240
; IeeeMode: 1
; LDSByteSize: 20480 bytes/workgroup (compile time only)
; SGPRBlocks: 8
; VGPRBlocks: 8
; NumSGPRsForWavesPerEU: 65
; NumVGPRsForWavesPerEU: 35
; Occupancy: 7
; WaveLimiterHint : 0
; COMPUTE_PGM_RSRC2:SCRATCH_EN: 0
; COMPUTE_PGM_RSRC2:USER_SGPR: 6
; COMPUTE_PGM_RSRC2:TRAP_HANDLER: 0
; COMPUTE_PGM_RSRC2:TGID_X_EN: 1
; COMPUTE_PGM_RSRC2:TGID_Y_EN: 0
; COMPUTE_PGM_RSRC2:TGID_Z_EN: 1
; COMPUTE_PGM_RSRC2:TIDIG_COMP_CNT: 0
	.section	.text._ZN9rocsparseL28coommnn_general_block_reduceILj1024E21rocsparse_complex_numIdElS2_EEvT1_S3_PKS3_PKT0_PT2_ll16rocsparse_order_,"axG",@progbits,_ZN9rocsparseL28coommnn_general_block_reduceILj1024E21rocsparse_complex_numIdElS2_EEvT1_S3_PKS3_PKT0_PT2_ll16rocsparse_order_,comdat
	.globl	_ZN9rocsparseL28coommnn_general_block_reduceILj1024E21rocsparse_complex_numIdElS2_EEvT1_S3_PKS3_PKT0_PT2_ll16rocsparse_order_ ; -- Begin function _ZN9rocsparseL28coommnn_general_block_reduceILj1024E21rocsparse_complex_numIdElS2_EEvT1_S3_PKS3_PKT0_PT2_ll16rocsparse_order_
	.p2align	8
	.type	_ZN9rocsparseL28coommnn_general_block_reduceILj1024E21rocsparse_complex_numIdElS2_EEvT1_S3_PKS3_PKT0_PT2_ll16rocsparse_order_,@function
_ZN9rocsparseL28coommnn_general_block_reduceILj1024E21rocsparse_complex_numIdElS2_EEvT1_S3_PKS3_PKT0_PT2_ll16rocsparse_order_: ; @_ZN9rocsparseL28coommnn_general_block_reduceILj1024E21rocsparse_complex_numIdElS2_EEvT1_S3_PKS3_PKT0_PT2_ll16rocsparse_order_
; %bb.0:
	s_load_dwordx4 s[16:19], s[4:5], 0x0
	s_waitcnt lgkmcnt(0)
	v_cmp_lt_i64_e64 s[0:1], s[18:19], 1
	s_and_b64 vcc, exec, s[0:1]
	s_cbranch_vccnz .LBB7_52
; %bb.1:
	s_load_dwordx8 s[8:15], s[4:5], 0x10
	s_load_dwordx2 s[44:45], s[4:5], 0x30
	s_load_dword s3, s[4:5], 0x38
	s_mov_b32 s2, s7
	s_mov_b32 s7, 0
	s_lshl_b64 s[42:43], s[6:7], 4
	s_waitcnt lgkmcnt(0)
	s_add_u32 s7, s12, s42
	v_subrev_co_u32_e32 v2, vcc, 1, v0
	v_mov_b32_e32 v3, 0x4000
	s_addc_u32 s48, s13, s43
	s_xor_b64 s[4:5], vcc, -1
	v_lshl_add_u32 v15, v2, 3, v3
	v_subrev_co_u32_e32 v2, vcc, 2, v0
	s_xor_b64 s[20:21], vcc, -1
	v_lshl_add_u32 v16, v2, 3, v3
	v_subrev_co_u32_e32 v2, vcc, 4, v0
	;; [unrolled: 3-line block ×6, first 2 shown]
	s_movk_i32 s0, 0x80
	s_xor_b64 s[30:31], vcc, -1
	v_lshl_add_u32 v26, v2, 3, v3
	v_subrev_co_u32_e32 v2, vcc, s0, v0
	s_movk_i32 s0, 0x100
	s_xor_b64 s[34:35], vcc, -1
	v_lshl_add_u32 v28, v2, 3, v3
	v_subrev_co_u32_e32 v2, vcc, s0, v0
	;; [unrolled: 4-line block ×3, first 2 shown]
	s_ashr_i32 s49, s2, 31
	s_xor_b64 s[38:39], vcc, -1
	s_cmp_lg_u32 s3, 1
	s_mul_hi_u32 s3, s44, s2
	s_mul_i32 s33, s44, s49
	s_cselect_b64 s[40:41], -1, 0
	s_add_i32 s3, s3, s33
	s_mul_i32 s33, s45, s2
	s_add_i32 s45, s3, s33
	s_mul_i32 s44, s44, s2
	s_lshl_b64 s[46:47], s[44:45], 4
	s_add_u32 s33, s7, s46
	s_mul_i32 s3, s15, s6
	s_mul_hi_u32 s7, s14, s6
	s_addc_u32 s44, s48, s47
	s_add_i32 s7, s7, s3
	s_mul_i32 s6, s14, s6
	s_lshl_b64 s[6:7], s[6:7], 4
	s_add_u32 s3, s12, s6
	s_addc_u32 s6, s13, s7
	s_add_u32 s12, s3, s46
	s_addc_u32 s13, s6, s47
	s_mul_hi_u32 s3, s18, s2
	s_mul_i32 s6, s18, s49
	s_add_i32 s3, s3, s6
	s_mul_i32 s6, s19, s2
	s_add_i32 s7, s3, s6
	s_mul_i32 s6, s18, s2
	s_lshl_b64 s[6:7], s[6:7], 3
	s_add_u32 s3, s8, s6
	v_lshlrev_b32_e32 v1, 3, v0
	s_addc_u32 s6, s9, s7
	v_lshl_add_u32 v32, v2, 3, v3
	v_mov_b32_e32 v2, s6
	v_add_co_u32_e32 v9, vcc, s3, v1
	s_mul_hi_u32 s3, s16, s2
	s_mul_i32 s6, s16, s49
	s_add_i32 s3, s3, s6
	s_mul_i32 s6, s17, s2
	s_add_i32 s3, s3, s6
	s_mul_i32 s2, s16, s2
	s_lshl_b64 s[2:3], s[2:3], 4
	s_add_u32 s2, s2, s42
	s_addc_u32 s3, s3, s43
	s_mul_i32 s3, s18, s3
	s_mul_hi_u32 s6, s18, s2
	s_add_i32 s3, s6, s3
	s_mul_i32 s6, s19, s2
	s_add_i32 s3, s3, s6
	s_mul_i32 s2, s18, s2
	s_add_u32 s2, s10, s2
	v_lshlrev_b32_e32 v14, 4, v0
	v_addc_co_u32_e32 v10, vcc, 0, v2, vcc
	s_addc_u32 s3, s11, s3
	v_or_b32_e32 v13, 0x4000, v1
	v_mov_b32_e32 v1, s3
	v_add_co_u32_e32 v2, vcc, s2, v14
	v_addc_co_u32_e32 v1, vcc, 0, v1, vcc
	s_movk_i32 s0, 0x3ff
	v_add_co_u32_e32 v11, vcc, 8, v2
	v_subrev_u32_e32 v17, 32, v14
	v_subrev_u32_e32 v19, 64, v14
	v_add_u32_e32 v21, 0xffffff80, v14
	v_add_u32_e32 v23, 0xffffff00, v14
	;; [unrolled: 1-line block ×7, first 2 shown]
	v_cmp_ne_u32_e64 s[0:1], s0, v0
	v_addc_co_u32_e32 v12, vcc, 0, v1, vcc
	s_mov_b64 s[6:7], 0
	s_branch .LBB7_3
.LBB7_2:                                ;   in Loop: Header=BB7_3 Depth=1
	s_or_b64 exec, exec, s[2:3]
	s_add_u32 s6, s6, 0x400
	v_add_co_u32_e32 v9, vcc, 0x2000, v9
	v_mov_b32_e32 v1, s18
	s_addc_u32 s7, s7, 0
	v_addc_co_u32_e32 v10, vcc, 0, v10, vcc
	v_mov_b32_e32 v2, s19
	v_add_co_u32_e32 v11, vcc, 0x4000, v11
	v_cmp_ge_i64_e64 s[2:3], s[6:7], v[1:2]
	v_addc_co_u32_e32 v12, vcc, 0, v12, vcc
	s_and_b64 vcc, exec, s[2:3]
	s_waitcnt vmcnt(0)
	s_barrier
	s_cbranch_vccnz .LBB7_52
.LBB7_3:                                ; =>This Inner Loop Header: Depth=1
	v_mov_b32_e32 v2, s7
	v_add_co_u32_e32 v1, vcc, s6, v0
	v_addc_co_u32_e32 v2, vcc, 0, v2, vcc
	v_cmp_gt_i64_e32 vcc, s[18:19], v[1:2]
	v_mov_b32_e32 v3, 0
	v_mov_b32_e32 v1, -1
	v_mov_b32_e32 v7, 0
	v_mov_b32_e32 v5, 0
	;; [unrolled: 1-line block ×3, first 2 shown]
	v_mov_b32_e32 v2, -1
	v_mov_b32_e32 v8, 0
	v_mov_b32_e32 v6, 0
	s_and_saveexec_b64 s[2:3], vcc
	s_cbranch_execz .LBB7_5
; %bb.4:                                ;   in Loop: Header=BB7_3 Depth=1
	global_load_dwordx2 v[1:2], v[9:10], off
	global_load_dwordx4 v[5:8], v[11:12], off offset:-8
.LBB7_5:                                ;   in Loop: Header=BB7_3 Depth=1
	s_or_b64 exec, exec, s[2:3]
	s_waitcnt vmcnt(1)
	ds_write_b64 v13, v[1:2]
	s_waitcnt vmcnt(0)
	ds_write_b128 v14, v[5:8]
	v_mov_b32_e32 v1, 0
	v_mov_b32_e32 v2, 0
	s_waitcnt lgkmcnt(0)
	s_barrier
	s_and_saveexec_b64 s[2:3], s[4:5]
	s_cbranch_execz .LBB7_9
; %bb.6:                                ;   in Loop: Header=BB7_3 Depth=1
	ds_read2_b64 v[3:6], v15 offset1:1
	v_mov_b32_e32 v1, 0
	v_mov_b32_e32 v2, 0
	s_waitcnt lgkmcnt(0)
	v_cmp_eq_u64_e32 vcc, v[5:6], v[3:4]
	v_mov_b32_e32 v3, 0
	v_mov_b32_e32 v4, 0
	s_and_saveexec_b64 s[8:9], vcc
; %bb.7:                                ;   in Loop: Header=BB7_3 Depth=1
	v_add_u32_e32 v1, -16, v14
	ds_read_b128 v[1:4], v1
; %bb.8:                                ;   in Loop: Header=BB7_3 Depth=1
	s_or_b64 exec, exec, s[8:9]
.LBB7_9:                                ;   in Loop: Header=BB7_3 Depth=1
	s_or_b64 exec, exec, s[2:3]
	s_waitcnt lgkmcnt(0)
	s_barrier
	ds_read_b128 v[5:8], v14
	s_waitcnt lgkmcnt(0)
	v_add_f64 v[34:35], v[1:2], v[5:6]
	v_add_f64 v[36:37], v[3:4], v[7:8]
	v_mov_b32_e32 v3, 0
	v_mov_b32_e32 v7, 0
	v_mov_b32_e32 v5, 0
	v_mov_b32_e32 v4, 0
	v_mov_b32_e32 v8, 0
	v_mov_b32_e32 v6, 0
	ds_write_b128 v14, v[34:37]
	s_waitcnt lgkmcnt(0)
	s_barrier
	s_and_saveexec_b64 s[2:3], s[20:21]
	s_cbranch_execz .LBB7_13
; %bb.10:                               ;   in Loop: Header=BB7_3 Depth=1
	ds_read_b64 v[1:2], v13
	ds_read_b64 v[7:8], v16
	v_mov_b32_e32 v5, 0
	v_mov_b32_e32 v6, 0
	s_waitcnt lgkmcnt(0)
	v_cmp_eq_u64_e32 vcc, v[1:2], v[7:8]
	v_mov_b32_e32 v7, 0
	v_mov_b32_e32 v8, 0
	s_and_saveexec_b64 s[8:9], vcc
; %bb.11:                               ;   in Loop: Header=BB7_3 Depth=1
	ds_read_b128 v[5:8], v17
; %bb.12:                               ;   in Loop: Header=BB7_3 Depth=1
	s_or_b64 exec, exec, s[8:9]
.LBB7_13:                               ;   in Loop: Header=BB7_3 Depth=1
	s_or_b64 exec, exec, s[2:3]
	s_waitcnt lgkmcnt(0)
	s_barrier
	ds_read_b128 v[34:37], v14
	v_mov_b32_e32 v1, 0
	v_mov_b32_e32 v2, 0
	s_waitcnt lgkmcnt(0)
	v_add_f64 v[5:6], v[5:6], v[34:35]
	v_add_f64 v[7:8], v[7:8], v[36:37]
	ds_write_b128 v14, v[5:8]
	s_waitcnt lgkmcnt(0)
	s_barrier
	s_and_saveexec_b64 s[2:3], s[22:23]
	s_cbranch_execz .LBB7_17
; %bb.14:                               ;   in Loop: Header=BB7_3 Depth=1
	ds_read_b64 v[3:4], v13
	ds_read_b64 v[5:6], v18
	v_mov_b32_e32 v1, 0
	v_mov_b32_e32 v2, 0
	s_waitcnt lgkmcnt(0)
	v_cmp_eq_u64_e32 vcc, v[3:4], v[5:6]
	v_mov_b32_e32 v3, 0
	v_mov_b32_e32 v4, 0
	s_and_saveexec_b64 s[8:9], vcc
; %bb.15:                               ;   in Loop: Header=BB7_3 Depth=1
	ds_read_b128 v[1:4], v19
; %bb.16:                               ;   in Loop: Header=BB7_3 Depth=1
	s_or_b64 exec, exec, s[8:9]
.LBB7_17:                               ;   in Loop: Header=BB7_3 Depth=1
	s_or_b64 exec, exec, s[2:3]
	s_waitcnt lgkmcnt(0)
	s_barrier
	ds_read_b128 v[5:8], v14
	s_waitcnt lgkmcnt(0)
	v_add_f64 v[34:35], v[1:2], v[5:6]
	v_add_f64 v[36:37], v[3:4], v[7:8]
	v_mov_b32_e32 v3, 0
	v_mov_b32_e32 v7, 0
	v_mov_b32_e32 v5, 0
	v_mov_b32_e32 v4, 0
	v_mov_b32_e32 v8, 0
	v_mov_b32_e32 v6, 0
	ds_write_b128 v14, v[34:37]
	s_waitcnt lgkmcnt(0)
	s_barrier
	s_and_saveexec_b64 s[2:3], s[24:25]
	s_cbranch_execz .LBB7_21
; %bb.18:                               ;   in Loop: Header=BB7_3 Depth=1
	ds_read_b64 v[1:2], v13
	ds_read_b64 v[7:8], v20
	v_mov_b32_e32 v5, 0
	v_mov_b32_e32 v6, 0
	s_waitcnt lgkmcnt(0)
	v_cmp_eq_u64_e32 vcc, v[1:2], v[7:8]
	v_mov_b32_e32 v7, 0
	v_mov_b32_e32 v8, 0
	s_and_saveexec_b64 s[8:9], vcc
; %bb.19:                               ;   in Loop: Header=BB7_3 Depth=1
	ds_read_b128 v[5:8], v21
; %bb.20:                               ;   in Loop: Header=BB7_3 Depth=1
	s_or_b64 exec, exec, s[8:9]
.LBB7_21:                               ;   in Loop: Header=BB7_3 Depth=1
	s_or_b64 exec, exec, s[2:3]
	s_waitcnt lgkmcnt(0)
	s_barrier
	ds_read_b128 v[34:37], v14
	v_mov_b32_e32 v1, 0
	v_mov_b32_e32 v2, 0
	s_waitcnt lgkmcnt(0)
	v_add_f64 v[5:6], v[5:6], v[34:35]
	v_add_f64 v[7:8], v[7:8], v[36:37]
	ds_write_b128 v14, v[5:8]
	s_waitcnt lgkmcnt(0)
	s_barrier
	s_and_saveexec_b64 s[2:3], s[26:27]
	s_cbranch_execz .LBB7_25
; %bb.22:                               ;   in Loop: Header=BB7_3 Depth=1
	ds_read_b64 v[3:4], v13
	ds_read_b64 v[5:6], v22
	v_mov_b32_e32 v1, 0
	v_mov_b32_e32 v2, 0
	s_waitcnt lgkmcnt(0)
	v_cmp_eq_u64_e32 vcc, v[3:4], v[5:6]
	v_mov_b32_e32 v3, 0
	v_mov_b32_e32 v4, 0
	s_and_saveexec_b64 s[8:9], vcc
; %bb.23:                               ;   in Loop: Header=BB7_3 Depth=1
	ds_read_b128 v[1:4], v23
; %bb.24:                               ;   in Loop: Header=BB7_3 Depth=1
	s_or_b64 exec, exec, s[8:9]
.LBB7_25:                               ;   in Loop: Header=BB7_3 Depth=1
	s_or_b64 exec, exec, s[2:3]
	s_waitcnt lgkmcnt(0)
	s_barrier
	ds_read_b128 v[5:8], v14
	s_waitcnt lgkmcnt(0)
	v_add_f64 v[34:35], v[1:2], v[5:6]
	v_add_f64 v[36:37], v[3:4], v[7:8]
	v_mov_b32_e32 v3, 0
	v_mov_b32_e32 v7, 0
	v_mov_b32_e32 v5, 0
	v_mov_b32_e32 v4, 0
	v_mov_b32_e32 v8, 0
	v_mov_b32_e32 v6, 0
	ds_write_b128 v14, v[34:37]
	s_waitcnt lgkmcnt(0)
	s_barrier
	s_and_saveexec_b64 s[2:3], s[28:29]
	s_cbranch_execz .LBB7_29
; %bb.26:                               ;   in Loop: Header=BB7_3 Depth=1
	ds_read_b64 v[1:2], v13
	ds_read_b64 v[7:8], v24
	v_mov_b32_e32 v5, 0
	v_mov_b32_e32 v6, 0
	s_waitcnt lgkmcnt(0)
	v_cmp_eq_u64_e32 vcc, v[1:2], v[7:8]
	v_mov_b32_e32 v7, 0
	v_mov_b32_e32 v8, 0
	s_and_saveexec_b64 s[8:9], vcc
; %bb.27:                               ;   in Loop: Header=BB7_3 Depth=1
	ds_read_b128 v[5:8], v25
; %bb.28:                               ;   in Loop: Header=BB7_3 Depth=1
	s_or_b64 exec, exec, s[8:9]
.LBB7_29:                               ;   in Loop: Header=BB7_3 Depth=1
	s_or_b64 exec, exec, s[2:3]
	s_waitcnt lgkmcnt(0)
	s_barrier
	ds_read_b128 v[34:37], v14
	v_mov_b32_e32 v1, 0
	v_mov_b32_e32 v2, 0
	s_waitcnt lgkmcnt(0)
	v_add_f64 v[5:6], v[5:6], v[34:35]
	v_add_f64 v[7:8], v[7:8], v[36:37]
	ds_write_b128 v14, v[5:8]
	s_waitcnt lgkmcnt(0)
	s_barrier
	s_and_saveexec_b64 s[2:3], s[30:31]
	s_cbranch_execz .LBB7_33
; %bb.30:                               ;   in Loop: Header=BB7_3 Depth=1
	ds_read_b64 v[3:4], v13
	ds_read_b64 v[5:6], v26
	v_mov_b32_e32 v1, 0
	v_mov_b32_e32 v2, 0
	s_waitcnt lgkmcnt(0)
	v_cmp_eq_u64_e32 vcc, v[3:4], v[5:6]
	v_mov_b32_e32 v3, 0
	v_mov_b32_e32 v4, 0
	s_and_saveexec_b64 s[8:9], vcc
; %bb.31:                               ;   in Loop: Header=BB7_3 Depth=1
	ds_read_b128 v[1:4], v27
; %bb.32:                               ;   in Loop: Header=BB7_3 Depth=1
	s_or_b64 exec, exec, s[8:9]
.LBB7_33:                               ;   in Loop: Header=BB7_3 Depth=1
	s_or_b64 exec, exec, s[2:3]
	s_waitcnt lgkmcnt(0)
	s_barrier
	ds_read_b128 v[5:8], v14
	s_waitcnt lgkmcnt(0)
	v_add_f64 v[34:35], v[1:2], v[5:6]
	v_add_f64 v[36:37], v[3:4], v[7:8]
	v_mov_b32_e32 v3, 0
	v_mov_b32_e32 v7, 0
	v_mov_b32_e32 v5, 0
	v_mov_b32_e32 v4, 0
	v_mov_b32_e32 v8, 0
	v_mov_b32_e32 v6, 0
	ds_write_b128 v14, v[34:37]
	s_waitcnt lgkmcnt(0)
	s_barrier
	s_and_saveexec_b64 s[2:3], s[34:35]
	s_cbranch_execz .LBB7_37
; %bb.34:                               ;   in Loop: Header=BB7_3 Depth=1
	ds_read_b64 v[1:2], v13
	ds_read_b64 v[7:8], v28
	v_mov_b32_e32 v5, 0
	v_mov_b32_e32 v6, 0
	s_waitcnt lgkmcnt(0)
	v_cmp_eq_u64_e32 vcc, v[1:2], v[7:8]
	v_mov_b32_e32 v7, 0
	v_mov_b32_e32 v8, 0
	s_and_saveexec_b64 s[8:9], vcc
; %bb.35:                               ;   in Loop: Header=BB7_3 Depth=1
	ds_read_b128 v[5:8], v29
; %bb.36:                               ;   in Loop: Header=BB7_3 Depth=1
	s_or_b64 exec, exec, s[8:9]
.LBB7_37:                               ;   in Loop: Header=BB7_3 Depth=1
	s_or_b64 exec, exec, s[2:3]
	s_waitcnt lgkmcnt(0)
	s_barrier
	ds_read_b128 v[34:37], v14
	v_mov_b32_e32 v1, 0
	v_mov_b32_e32 v2, 0
	s_waitcnt lgkmcnt(0)
	v_add_f64 v[5:6], v[5:6], v[34:35]
	v_add_f64 v[7:8], v[7:8], v[36:37]
	ds_write_b128 v14, v[5:8]
	s_waitcnt lgkmcnt(0)
	s_barrier
	s_and_saveexec_b64 s[2:3], s[36:37]
	s_cbranch_execz .LBB7_41
; %bb.38:                               ;   in Loop: Header=BB7_3 Depth=1
	ds_read_b64 v[3:4], v13
	ds_read_b64 v[5:6], v30
	v_mov_b32_e32 v1, 0
	v_mov_b32_e32 v2, 0
	s_waitcnt lgkmcnt(0)
	v_cmp_eq_u64_e32 vcc, v[3:4], v[5:6]
	v_mov_b32_e32 v3, 0
	v_mov_b32_e32 v4, 0
	s_and_saveexec_b64 s[8:9], vcc
; %bb.39:                               ;   in Loop: Header=BB7_3 Depth=1
	ds_read_b128 v[1:4], v31
; %bb.40:                               ;   in Loop: Header=BB7_3 Depth=1
	s_or_b64 exec, exec, s[8:9]
.LBB7_41:                               ;   in Loop: Header=BB7_3 Depth=1
	s_or_b64 exec, exec, s[2:3]
	s_waitcnt lgkmcnt(0)
	s_barrier
	ds_read_b128 v[5:8], v14
	s_waitcnt lgkmcnt(0)
	v_add_f64 v[5:6], v[1:2], v[5:6]
	v_add_f64 v[7:8], v[3:4], v[7:8]
	v_mov_b32_e32 v3, 0
	v_mov_b32_e32 v1, 0
	;; [unrolled: 1-line block ×4, first 2 shown]
	ds_write_b128 v14, v[5:8]
	s_waitcnt lgkmcnt(0)
	s_barrier
	s_and_saveexec_b64 s[2:3], s[38:39]
	s_cbranch_execz .LBB7_45
; %bb.42:                               ;   in Loop: Header=BB7_3 Depth=1
	ds_read_b64 v[3:4], v13
	ds_read_b64 v[5:6], v32
	v_mov_b32_e32 v1, 0
	v_mov_b32_e32 v2, 0
	s_waitcnt lgkmcnt(0)
	v_cmp_eq_u64_e32 vcc, v[3:4], v[5:6]
	v_mov_b32_e32 v3, 0
	v_mov_b32_e32 v4, 0
	s_and_saveexec_b64 s[8:9], vcc
; %bb.43:                               ;   in Loop: Header=BB7_3 Depth=1
	ds_read_b128 v[1:4], v33
; %bb.44:                               ;   in Loop: Header=BB7_3 Depth=1
	s_or_b64 exec, exec, s[8:9]
.LBB7_45:                               ;   in Loop: Header=BB7_3 Depth=1
	s_or_b64 exec, exec, s[2:3]
	s_waitcnt lgkmcnt(0)
	s_barrier
	ds_read_b128 v[5:8], v14
	s_waitcnt lgkmcnt(0)
	v_add_f64 v[1:2], v[1:2], v[5:6]
	v_add_f64 v[3:4], v[3:4], v[7:8]
	ds_write_b128 v14, v[1:4]
	s_waitcnt lgkmcnt(0)
	s_barrier
	ds_read_b64 v[1:2], v13
	v_mov_b32_e32 v3, -1
	v_mov_b32_e32 v4, -1
	s_and_saveexec_b64 s[2:3], s[0:1]
; %bb.46:                               ;   in Loop: Header=BB7_3 Depth=1
	ds_read_b64 v[3:4], v13 offset:8
; %bb.47:                               ;   in Loop: Header=BB7_3 Depth=1
	s_or_b64 exec, exec, s[2:3]
	s_waitcnt lgkmcnt(0)
	v_cmp_ne_u64_e32 vcc, v[1:2], v[3:4]
	v_cmp_lt_i64_e64 s[2:3], -1, v[1:2]
	s_and_b64 s[8:9], s[2:3], vcc
	s_and_saveexec_b64 s[2:3], s[8:9]
	s_cbranch_execz .LBB7_2
; %bb.48:                               ;   in Loop: Header=BB7_3 Depth=1
	s_mov_b64 s[8:9], -1
	s_and_b64 vcc, exec, s[40:41]
	s_cbranch_vccz .LBB7_50
; %bb.49:                               ;   in Loop: Header=BB7_3 Depth=1
	v_mul_lo_u32 v5, v2, s14
	v_mul_lo_u32 v6, v1, s15
	v_mad_u64_u32 v[3:4], s[8:9], v1, s14, 0
	ds_read_b128 v[34:37], v14
	s_mov_b64 s[8:9], 0
	v_add3_u32 v4, v4, v6, v5
	v_lshlrev_b64 v[3:4], 4, v[3:4]
	v_mov_b32_e32 v5, s44
	v_add_co_u32_e32 v7, vcc, s33, v3
	v_addc_co_u32_e32 v8, vcc, v5, v4, vcc
	global_load_dwordx4 v[3:6], v[7:8], off
	s_waitcnt vmcnt(0) lgkmcnt(0)
	v_add_f64 v[3:4], v[34:35], v[3:4]
	v_add_f64 v[5:6], v[36:37], v[5:6]
	global_store_dwordx4 v[7:8], v[3:6], off
.LBB7_50:                               ;   in Loop: Header=BB7_3 Depth=1
	s_andn2_b64 vcc, exec, s[8:9]
	s_cbranch_vccnz .LBB7_2
; %bb.51:                               ;   in Loop: Header=BB7_3 Depth=1
	v_lshlrev_b64 v[1:2], 4, v[1:2]
	v_mov_b32_e32 v3, s13
	v_add_co_u32_e32 v34, vcc, s12, v1
	v_addc_co_u32_e32 v35, vcc, v3, v2, vcc
	global_load_dwordx4 v[1:4], v[34:35], off
	ds_read_b128 v[5:8], v14
	s_waitcnt vmcnt(0) lgkmcnt(0)
	v_add_f64 v[1:2], v[5:6], v[1:2]
	v_add_f64 v[3:4], v[7:8], v[3:4]
	global_store_dwordx4 v[34:35], v[1:4], off
	s_branch .LBB7_2
.LBB7_52:
	s_endpgm
	.section	.rodata,"a",@progbits
	.p2align	6, 0x0
	.amdhsa_kernel _ZN9rocsparseL28coommnn_general_block_reduceILj1024E21rocsparse_complex_numIdElS2_EEvT1_S3_PKS3_PKT0_PT2_ll16rocsparse_order_
		.amdhsa_group_segment_fixed_size 24576
		.amdhsa_private_segment_fixed_size 0
		.amdhsa_kernarg_size 60
		.amdhsa_user_sgpr_count 6
		.amdhsa_user_sgpr_private_segment_buffer 1
		.amdhsa_user_sgpr_dispatch_ptr 0
		.amdhsa_user_sgpr_queue_ptr 0
		.amdhsa_user_sgpr_kernarg_segment_ptr 1
		.amdhsa_user_sgpr_dispatch_id 0
		.amdhsa_user_sgpr_flat_scratch_init 0
		.amdhsa_user_sgpr_private_segment_size 0
		.amdhsa_uses_dynamic_stack 0
		.amdhsa_system_sgpr_private_segment_wavefront_offset 0
		.amdhsa_system_sgpr_workgroup_id_x 1
		.amdhsa_system_sgpr_workgroup_id_y 0
		.amdhsa_system_sgpr_workgroup_id_z 1
		.amdhsa_system_sgpr_workgroup_info 0
		.amdhsa_system_vgpr_workitem_id 0
		.amdhsa_next_free_vgpr 38
		.amdhsa_next_free_sgpr 61
		.amdhsa_reserve_vcc 1
		.amdhsa_reserve_flat_scratch 0
		.amdhsa_float_round_mode_32 0
		.amdhsa_float_round_mode_16_64 0
		.amdhsa_float_denorm_mode_32 3
		.amdhsa_float_denorm_mode_16_64 3
		.amdhsa_dx10_clamp 1
		.amdhsa_ieee_mode 1
		.amdhsa_fp16_overflow 0
		.amdhsa_exception_fp_ieee_invalid_op 0
		.amdhsa_exception_fp_denorm_src 0
		.amdhsa_exception_fp_ieee_div_zero 0
		.amdhsa_exception_fp_ieee_overflow 0
		.amdhsa_exception_fp_ieee_underflow 0
		.amdhsa_exception_fp_ieee_inexact 0
		.amdhsa_exception_int_div_zero 0
	.end_amdhsa_kernel
	.section	.text._ZN9rocsparseL28coommnn_general_block_reduceILj1024E21rocsparse_complex_numIdElS2_EEvT1_S3_PKS3_PKT0_PT2_ll16rocsparse_order_,"axG",@progbits,_ZN9rocsparseL28coommnn_general_block_reduceILj1024E21rocsparse_complex_numIdElS2_EEvT1_S3_PKS3_PKT0_PT2_ll16rocsparse_order_,comdat
.Lfunc_end7:
	.size	_ZN9rocsparseL28coommnn_general_block_reduceILj1024E21rocsparse_complex_numIdElS2_EEvT1_S3_PKS3_PKT0_PT2_ll16rocsparse_order_, .Lfunc_end7-_ZN9rocsparseL28coommnn_general_block_reduceILj1024E21rocsparse_complex_numIdElS2_EEvT1_S3_PKS3_PKT0_PT2_ll16rocsparse_order_
                                        ; -- End function
	.set _ZN9rocsparseL28coommnn_general_block_reduceILj1024E21rocsparse_complex_numIdElS2_EEvT1_S3_PKS3_PKT0_PT2_ll16rocsparse_order_.num_vgpr, 38
	.set _ZN9rocsparseL28coommnn_general_block_reduceILj1024E21rocsparse_complex_numIdElS2_EEvT1_S3_PKS3_PKT0_PT2_ll16rocsparse_order_.num_agpr, 0
	.set _ZN9rocsparseL28coommnn_general_block_reduceILj1024E21rocsparse_complex_numIdElS2_EEvT1_S3_PKS3_PKT0_PT2_ll16rocsparse_order_.numbered_sgpr, 50
	.set _ZN9rocsparseL28coommnn_general_block_reduceILj1024E21rocsparse_complex_numIdElS2_EEvT1_S3_PKS3_PKT0_PT2_ll16rocsparse_order_.num_named_barrier, 0
	.set _ZN9rocsparseL28coommnn_general_block_reduceILj1024E21rocsparse_complex_numIdElS2_EEvT1_S3_PKS3_PKT0_PT2_ll16rocsparse_order_.private_seg_size, 0
	.set _ZN9rocsparseL28coommnn_general_block_reduceILj1024E21rocsparse_complex_numIdElS2_EEvT1_S3_PKS3_PKT0_PT2_ll16rocsparse_order_.uses_vcc, 1
	.set _ZN9rocsparseL28coommnn_general_block_reduceILj1024E21rocsparse_complex_numIdElS2_EEvT1_S3_PKS3_PKT0_PT2_ll16rocsparse_order_.uses_flat_scratch, 0
	.set _ZN9rocsparseL28coommnn_general_block_reduceILj1024E21rocsparse_complex_numIdElS2_EEvT1_S3_PKS3_PKT0_PT2_ll16rocsparse_order_.has_dyn_sized_stack, 0
	.set _ZN9rocsparseL28coommnn_general_block_reduceILj1024E21rocsparse_complex_numIdElS2_EEvT1_S3_PKS3_PKT0_PT2_ll16rocsparse_order_.has_recursion, 0
	.set _ZN9rocsparseL28coommnn_general_block_reduceILj1024E21rocsparse_complex_numIdElS2_EEvT1_S3_PKS3_PKT0_PT2_ll16rocsparse_order_.has_indirect_call, 0
	.section	.AMDGPU.csdata,"",@progbits
; Kernel info:
; codeLenInByte = 2356
; TotalNumSgprs: 54
; NumVgprs: 38
; ScratchSize: 0
; MemoryBound: 1
; FloatMode: 240
; IeeeMode: 1
; LDSByteSize: 24576 bytes/workgroup (compile time only)
; SGPRBlocks: 8
; VGPRBlocks: 9
; NumSGPRsForWavesPerEU: 65
; NumVGPRsForWavesPerEU: 38
; Occupancy: 6
; WaveLimiterHint : 0
; COMPUTE_PGM_RSRC2:SCRATCH_EN: 0
; COMPUTE_PGM_RSRC2:USER_SGPR: 6
; COMPUTE_PGM_RSRC2:TRAP_HANDLER: 0
; COMPUTE_PGM_RSRC2:TGID_X_EN: 1
; COMPUTE_PGM_RSRC2:TGID_Y_EN: 0
; COMPUTE_PGM_RSRC2:TGID_Z_EN: 1
; COMPUTE_PGM_RSRC2:TIDIG_COMP_CNT: 0
	.section	.text._ZN9rocsparseL28coommnn_general_block_reduceILj1024EiiiEEvT1_S1_PKS1_PKT0_PT2_ll16rocsparse_order_,"axG",@progbits,_ZN9rocsparseL28coommnn_general_block_reduceILj1024EiiiEEvT1_S1_PKS1_PKT0_PT2_ll16rocsparse_order_,comdat
	.globl	_ZN9rocsparseL28coommnn_general_block_reduceILj1024EiiiEEvT1_S1_PKS1_PKT0_PT2_ll16rocsparse_order_ ; -- Begin function _ZN9rocsparseL28coommnn_general_block_reduceILj1024EiiiEEvT1_S1_PKS1_PKT0_PT2_ll16rocsparse_order_
	.p2align	8
	.type	_ZN9rocsparseL28coommnn_general_block_reduceILj1024EiiiEEvT1_S1_PKS1_PKT0_PT2_ll16rocsparse_order_,@function
_ZN9rocsparseL28coommnn_general_block_reduceILj1024EiiiEEvT1_S1_PKS1_PKT0_PT2_ll16rocsparse_order_: ; @_ZN9rocsparseL28coommnn_general_block_reduceILj1024EiiiEEvT1_S1_PKS1_PKT0_PT2_ll16rocsparse_order_
; %bb.0:
	s_load_dwordx2 s[16:17], s[4:5], 0x0
	s_waitcnt lgkmcnt(0)
	s_cmp_lt_i32 s17, 1
	s_cbranch_scc1 .LBB8_52
; %bb.1:
	v_subrev_co_u32_e32 v1, vcc, 1, v0
	v_mov_b32_e32 v2, 0x1000
	s_load_dwordx8 s[8:15], s[4:5], 0x8
	s_load_dwordx2 s[2:3], s[4:5], 0x28
	s_load_dword s33, s[4:5], 0x30
	s_xor_b64 s[4:5], vcc, -1
	v_lshl_add_u32 v6, v1, 2, v2
	v_subrev_co_u32_e32 v1, vcc, 2, v0
	s_xor_b64 s[18:19], vcc, -1
	v_lshl_add_u32 v8, v1, 2, v2
	v_subrev_co_u32_e32 v1, vcc, 4, v0
	;; [unrolled: 3-line block ×3, first 2 shown]
	s_mul_i32 s0, s16, s7
	s_xor_b64 s[22:23], vcc, -1
	v_lshl_add_u32 v12, v1, 2, v2
	v_subrev_co_u32_e32 v1, vcc, 16, v0
	s_add_i32 s0, s0, s6
	s_xor_b64 s[24:25], vcc, -1
	v_lshl_add_u32 v14, v1, 2, v2
	v_subrev_co_u32_e32 v1, vcc, 32, v0
	s_mul_i32 s43, s0, s17
	s_xor_b64 s[26:27], vcc, -1
	v_lshl_add_u32 v16, v1, 2, v2
	v_subrev_co_u32_e32 v1, vcc, 64, v0
	s_movk_i32 s0, 0x80
	s_xor_b64 s[28:29], vcc, -1
	v_lshl_add_u32 v18, v1, 2, v2
	v_subrev_co_u32_e32 v1, vcc, s0, v0
	s_movk_i32 s0, 0x100
	;; [unrolled: 4-line block ×3, first 2 shown]
	s_xor_b64 s[34:35], vcc, -1
	v_lshl_add_u32 v22, v1, 2, v2
	v_subrev_co_u32_e32 v1, vcc, s0, v0
	s_xor_b64 s[36:37], vcc, -1
	s_waitcnt lgkmcnt(0)
	s_cmp_lg_u32 s33, 1
	s_mov_b32 s16, s7
	s_cselect_b64 s[38:39], -1, 0
	s_ashr_i32 s33, s16, 31
	s_mul_hi_u32 s40, s2, s16
	s_mul_i32 s33, s2, s33
	s_mul_i32 s42, s17, s7
	s_ashr_i32 s7, s6, 31
	s_add_i32 s33, s40, s33
	s_mul_i32 s3, s3, s16
	s_add_i32 s3, s33, s3
	s_lshl_b64 s[40:41], s[6:7], 2
	s_mul_i32 s2, s2, s16
	s_add_u32 s16, s12, s40
	s_addc_u32 s33, s13, s41
	s_lshl_b64 s[2:3], s[2:3], 2
	s_add_u32 s16, s16, s2
	s_mul_hi_u32 s40, s14, s6
	s_mul_i32 s7, s14, s7
	s_addc_u32 s33, s33, s3
	s_add_i32 s7, s40, s7
	s_mul_i32 s40, s15, s6
	s_add_i32 s7, s7, s40
	s_mul_i32 s6, s14, s6
	s_lshl_b64 s[6:7], s[6:7], 2
	s_add_u32 s6, s12, s6
	s_addc_u32 s7, s13, s7
	v_lshlrev_b32_e32 v3, 2, v0
	s_movk_i32 s0, 0x3ff
	s_add_u32 s12, s6, s2
	v_or_b32_e32 v4, 0x1000, v3
	v_add_u32_e32 v5, -4, v3
	v_add_u32_e32 v7, -8, v3
	;; [unrolled: 1-line block ×3, first 2 shown]
	v_subrev_u32_e32 v11, 32, v3
	v_subrev_u32_e32 v13, 64, v3
	v_add_u32_e32 v15, 0xffffff80, v3
	v_add_u32_e32 v17, 0xffffff00, v3
	;; [unrolled: 1-line block ×5, first 2 shown]
	v_lshl_add_u32 v24, v1, 2, v2
	v_cmp_ne_u32_e64 s[0:1], s0, v0
	s_addc_u32 s13, s7, s3
	v_add_u32_e32 v25, s42, v0
	v_add_u32_e32 v26, s43, v0
	s_mov_b32 s40, 0
	v_mov_b32_e32 v2, 0
	s_branch .LBB8_3
.LBB8_2:                                ;   in Loop: Header=BB8_3 Depth=1
	s_or_b64 exec, exec, s[2:3]
	s_addk_i32 s40, 0x400
	s_cmp_ge_i32 s40, s17
	s_waitcnt vmcnt(0) lgkmcnt(0)
	s_barrier
	s_cbranch_scc1 .LBB8_52
.LBB8_3:                                ; =>This Inner Loop Header: Depth=1
	v_add_u32_e32 v1, s40, v0
	v_cmp_gt_i32_e32 vcc, s17, v1
	v_mov_b32_e32 v1, -1
	v_mov_b32_e32 v27, 0
	s_and_saveexec_b64 s[2:3], vcc
	s_cbranch_execz .LBB8_5
; %bb.4:                                ;   in Loop: Header=BB8_3 Depth=1
	v_add_u32_e32 v27, s40, v25
	v_ashrrev_i32_e32 v28, 31, v27
	v_lshlrev_b64 v[27:28], 2, v[27:28]
	v_mov_b32_e32 v1, s9
	v_add_co_u32_e32 v27, vcc, s8, v27
	v_addc_co_u32_e32 v28, vcc, v1, v28, vcc
	global_load_dword v1, v[27:28], off
	v_add_u32_e32 v27, s40, v26
	v_ashrrev_i32_e32 v28, 31, v27
	v_lshlrev_b64 v[27:28], 2, v[27:28]
	v_mov_b32_e32 v29, s11
	v_add_co_u32_e32 v27, vcc, s10, v27
	v_addc_co_u32_e32 v28, vcc, v29, v28, vcc
	global_load_dword v27, v[27:28], off
.LBB8_5:                                ;   in Loop: Header=BB8_3 Depth=1
	s_or_b64 exec, exec, s[2:3]
	s_waitcnt vmcnt(1)
	ds_write_b32 v3, v1
	s_waitcnt vmcnt(0)
	ds_write_b32 v4, v27
	v_mov_b32_e32 v1, 0
	v_mov_b32_e32 v27, 0
	s_waitcnt lgkmcnt(0)
	s_barrier
	s_and_saveexec_b64 s[2:3], s[4:5]
	s_cbranch_execz .LBB8_9
; %bb.6:                                ;   in Loop: Header=BB8_3 Depth=1
	ds_read2_b32 v[27:28], v5 offset1:1
	s_waitcnt lgkmcnt(0)
	v_cmp_eq_u32_e32 vcc, v28, v27
	v_mov_b32_e32 v27, 0
	s_and_saveexec_b64 s[6:7], vcc
; %bb.7:                                ;   in Loop: Header=BB8_3 Depth=1
	ds_read_b32 v27, v6
; %bb.8:                                ;   in Loop: Header=BB8_3 Depth=1
	s_or_b64 exec, exec, s[6:7]
.LBB8_9:                                ;   in Loop: Header=BB8_3 Depth=1
	s_or_b64 exec, exec, s[2:3]
	s_waitcnt lgkmcnt(0)
	s_barrier
	ds_read_b32 v28, v4
	s_waitcnt lgkmcnt(0)
	v_add_u32_e32 v27, v28, v27
	ds_write_b32 v4, v27
	s_waitcnt lgkmcnt(0)
	s_barrier
	s_and_saveexec_b64 s[2:3], s[18:19]
	s_cbranch_execz .LBB8_13
; %bb.10:                               ;   in Loop: Header=BB8_3 Depth=1
	ds_read_b32 v1, v3
	ds_read_b32 v27, v7
	s_waitcnt lgkmcnt(0)
	v_cmp_eq_u32_e32 vcc, v1, v27
	v_mov_b32_e32 v1, 0
	s_and_saveexec_b64 s[6:7], vcc
; %bb.11:                               ;   in Loop: Header=BB8_3 Depth=1
	ds_read_b32 v1, v8
; %bb.12:                               ;   in Loop: Header=BB8_3 Depth=1
	s_or_b64 exec, exec, s[6:7]
.LBB8_13:                               ;   in Loop: Header=BB8_3 Depth=1
	s_or_b64 exec, exec, s[2:3]
	s_waitcnt lgkmcnt(0)
	s_barrier
	ds_read_b32 v27, v4
	s_waitcnt lgkmcnt(0)
	v_add_u32_e32 v1, v27, v1
	ds_write_b32 v4, v1
	v_mov_b32_e32 v1, 0
	v_mov_b32_e32 v27, 0
	s_waitcnt lgkmcnt(0)
	s_barrier
	s_and_saveexec_b64 s[2:3], s[20:21]
	s_cbranch_execz .LBB8_17
; %bb.14:                               ;   in Loop: Header=BB8_3 Depth=1
	ds_read_b32 v27, v3
	ds_read_b32 v28, v9
	s_waitcnt lgkmcnt(0)
	v_cmp_eq_u32_e32 vcc, v27, v28
	v_mov_b32_e32 v27, 0
	s_and_saveexec_b64 s[6:7], vcc
; %bb.15:                               ;   in Loop: Header=BB8_3 Depth=1
	ds_read_b32 v27, v10
; %bb.16:                               ;   in Loop: Header=BB8_3 Depth=1
	s_or_b64 exec, exec, s[6:7]
.LBB8_17:                               ;   in Loop: Header=BB8_3 Depth=1
	s_or_b64 exec, exec, s[2:3]
	s_waitcnt lgkmcnt(0)
	s_barrier
	ds_read_b32 v28, v4
	s_waitcnt lgkmcnt(0)
	v_add_u32_e32 v27, v28, v27
	ds_write_b32 v4, v27
	s_waitcnt lgkmcnt(0)
	s_barrier
	s_and_saveexec_b64 s[2:3], s[22:23]
	s_cbranch_execz .LBB8_21
; %bb.18:                               ;   in Loop: Header=BB8_3 Depth=1
	ds_read_b32 v1, v3
	ds_read_b32 v27, v11
	s_waitcnt lgkmcnt(0)
	v_cmp_eq_u32_e32 vcc, v1, v27
	v_mov_b32_e32 v1, 0
	s_and_saveexec_b64 s[6:7], vcc
; %bb.19:                               ;   in Loop: Header=BB8_3 Depth=1
	ds_read_b32 v1, v12
; %bb.20:                               ;   in Loop: Header=BB8_3 Depth=1
	s_or_b64 exec, exec, s[6:7]
.LBB8_21:                               ;   in Loop: Header=BB8_3 Depth=1
	s_or_b64 exec, exec, s[2:3]
	s_waitcnt lgkmcnt(0)
	s_barrier
	ds_read_b32 v27, v4
	s_waitcnt lgkmcnt(0)
	v_add_u32_e32 v1, v27, v1
	ds_write_b32 v4, v1
	v_mov_b32_e32 v1, 0
	v_mov_b32_e32 v27, 0
	s_waitcnt lgkmcnt(0)
	s_barrier
	s_and_saveexec_b64 s[2:3], s[24:25]
	s_cbranch_execz .LBB8_25
; %bb.22:                               ;   in Loop: Header=BB8_3 Depth=1
	ds_read_b32 v27, v3
	ds_read_b32 v28, v13
	s_waitcnt lgkmcnt(0)
	v_cmp_eq_u32_e32 vcc, v27, v28
	v_mov_b32_e32 v27, 0
	s_and_saveexec_b64 s[6:7], vcc
; %bb.23:                               ;   in Loop: Header=BB8_3 Depth=1
	ds_read_b32 v27, v14
; %bb.24:                               ;   in Loop: Header=BB8_3 Depth=1
	s_or_b64 exec, exec, s[6:7]
.LBB8_25:                               ;   in Loop: Header=BB8_3 Depth=1
	;; [unrolled: 48-line block ×4, first 2 shown]
	s_or_b64 exec, exec, s[2:3]
	s_waitcnt lgkmcnt(0)
	s_barrier
	ds_read_b32 v28, v4
	s_waitcnt lgkmcnt(0)
	v_add_u32_e32 v27, v28, v27
	ds_write_b32 v4, v27
	s_waitcnt lgkmcnt(0)
	s_barrier
	s_and_saveexec_b64 s[2:3], s[36:37]
	s_cbranch_execz .LBB8_45
; %bb.42:                               ;   in Loop: Header=BB8_3 Depth=1
	ds_read_b32 v1, v3
	ds_read_b32 v27, v23
	s_waitcnt lgkmcnt(0)
	v_cmp_eq_u32_e32 vcc, v1, v27
	v_mov_b32_e32 v1, 0
	s_and_saveexec_b64 s[6:7], vcc
; %bb.43:                               ;   in Loop: Header=BB8_3 Depth=1
	ds_read_b32 v1, v24
; %bb.44:                               ;   in Loop: Header=BB8_3 Depth=1
	s_or_b64 exec, exec, s[6:7]
.LBB8_45:                               ;   in Loop: Header=BB8_3 Depth=1
	s_or_b64 exec, exec, s[2:3]
	s_waitcnt lgkmcnt(0)
	s_barrier
	ds_read_b32 v27, v4
	s_waitcnt lgkmcnt(0)
	v_add_u32_e32 v1, v27, v1
	ds_write_b32 v4, v1
	s_waitcnt lgkmcnt(0)
	s_barrier
	ds_read_b32 v1, v3
	v_mov_b32_e32 v27, -1
	s_and_saveexec_b64 s[2:3], s[0:1]
; %bb.46:                               ;   in Loop: Header=BB8_3 Depth=1
	ds_read_b32 v27, v3 offset:4
; %bb.47:                               ;   in Loop: Header=BB8_3 Depth=1
	s_or_b64 exec, exec, s[2:3]
	s_waitcnt lgkmcnt(0)
	v_cmp_ne_u32_e32 vcc, v1, v27
	v_cmp_lt_i32_e64 s[2:3], -1, v1
	s_and_b64 s[6:7], s[2:3], vcc
	s_and_saveexec_b64 s[2:3], s[6:7]
	s_cbranch_execz .LBB8_2
; %bb.48:                               ;   in Loop: Header=BB8_3 Depth=1
	ds_read_b32 v27, v4
	s_mov_b64 s[6:7], -1
	s_and_b64 vcc, exec, s[38:39]
	s_cbranch_vccz .LBB8_50
; %bb.49:                               ;   in Loop: Header=BB8_3 Depth=1
	v_mad_u64_u32 v[28:29], s[6:7], s14, v1, 0
	v_mad_u64_u32 v[29:30], s[6:7], s15, v1, v[29:30]
	v_mov_b32_e32 v30, s33
	s_mov_b64 s[6:7], 0
	v_lshlrev_b64 v[28:29], 2, v[28:29]
	v_add_co_u32_e32 v28, vcc, s16, v28
	v_addc_co_u32_e32 v29, vcc, v30, v29, vcc
	global_load_dword v30, v[28:29], off
	s_waitcnt vmcnt(0) lgkmcnt(0)
	v_add_u32_e32 v30, v30, v27
	global_store_dword v[28:29], v30, off
.LBB8_50:                               ;   in Loop: Header=BB8_3 Depth=1
	s_andn2_b64 vcc, exec, s[6:7]
	s_cbranch_vccnz .LBB8_2
; %bb.51:                               ;   in Loop: Header=BB8_3 Depth=1
	v_lshlrev_b64 v[28:29], 2, v[1:2]
	v_mov_b32_e32 v1, s13
	v_add_co_u32_e32 v28, vcc, s12, v28
	v_addc_co_u32_e32 v29, vcc, v1, v29, vcc
	global_load_dword v1, v[28:29], off
	s_waitcnt vmcnt(0) lgkmcnt(0)
	v_add_u32_e32 v1, v1, v27
	global_store_dword v[28:29], v1, off
	s_branch .LBB8_2
.LBB8_52:
	s_endpgm
	.section	.rodata,"a",@progbits
	.p2align	6, 0x0
	.amdhsa_kernel _ZN9rocsparseL28coommnn_general_block_reduceILj1024EiiiEEvT1_S1_PKS1_PKT0_PT2_ll16rocsparse_order_
		.amdhsa_group_segment_fixed_size 8192
		.amdhsa_private_segment_fixed_size 0
		.amdhsa_kernarg_size 52
		.amdhsa_user_sgpr_count 6
		.amdhsa_user_sgpr_private_segment_buffer 1
		.amdhsa_user_sgpr_dispatch_ptr 0
		.amdhsa_user_sgpr_queue_ptr 0
		.amdhsa_user_sgpr_kernarg_segment_ptr 1
		.amdhsa_user_sgpr_dispatch_id 0
		.amdhsa_user_sgpr_flat_scratch_init 0
		.amdhsa_user_sgpr_private_segment_size 0
		.amdhsa_uses_dynamic_stack 0
		.amdhsa_system_sgpr_private_segment_wavefront_offset 0
		.amdhsa_system_sgpr_workgroup_id_x 1
		.amdhsa_system_sgpr_workgroup_id_y 0
		.amdhsa_system_sgpr_workgroup_id_z 1
		.amdhsa_system_sgpr_workgroup_info 0
		.amdhsa_system_vgpr_workitem_id 0
		.amdhsa_next_free_vgpr 31
		.amdhsa_next_free_sgpr 61
		.amdhsa_reserve_vcc 1
		.amdhsa_reserve_flat_scratch 0
		.amdhsa_float_round_mode_32 0
		.amdhsa_float_round_mode_16_64 0
		.amdhsa_float_denorm_mode_32 3
		.amdhsa_float_denorm_mode_16_64 3
		.amdhsa_dx10_clamp 1
		.amdhsa_ieee_mode 1
		.amdhsa_fp16_overflow 0
		.amdhsa_exception_fp_ieee_invalid_op 0
		.amdhsa_exception_fp_denorm_src 0
		.amdhsa_exception_fp_ieee_div_zero 0
		.amdhsa_exception_fp_ieee_overflow 0
		.amdhsa_exception_fp_ieee_underflow 0
		.amdhsa_exception_fp_ieee_inexact 0
		.amdhsa_exception_int_div_zero 0
	.end_amdhsa_kernel
	.section	.text._ZN9rocsparseL28coommnn_general_block_reduceILj1024EiiiEEvT1_S1_PKS1_PKT0_PT2_ll16rocsparse_order_,"axG",@progbits,_ZN9rocsparseL28coommnn_general_block_reduceILj1024EiiiEEvT1_S1_PKS1_PKT0_PT2_ll16rocsparse_order_,comdat
.Lfunc_end8:
	.size	_ZN9rocsparseL28coommnn_general_block_reduceILj1024EiiiEEvT1_S1_PKS1_PKT0_PT2_ll16rocsparse_order_, .Lfunc_end8-_ZN9rocsparseL28coommnn_general_block_reduceILj1024EiiiEEvT1_S1_PKS1_PKT0_PT2_ll16rocsparse_order_
                                        ; -- End function
	.set _ZN9rocsparseL28coommnn_general_block_reduceILj1024EiiiEEvT1_S1_PKS1_PKT0_PT2_ll16rocsparse_order_.num_vgpr, 31
	.set _ZN9rocsparseL28coommnn_general_block_reduceILj1024EiiiEEvT1_S1_PKS1_PKT0_PT2_ll16rocsparse_order_.num_agpr, 0
	.set _ZN9rocsparseL28coommnn_general_block_reduceILj1024EiiiEEvT1_S1_PKS1_PKT0_PT2_ll16rocsparse_order_.numbered_sgpr, 44
	.set _ZN9rocsparseL28coommnn_general_block_reduceILj1024EiiiEEvT1_S1_PKS1_PKT0_PT2_ll16rocsparse_order_.num_named_barrier, 0
	.set _ZN9rocsparseL28coommnn_general_block_reduceILj1024EiiiEEvT1_S1_PKS1_PKT0_PT2_ll16rocsparse_order_.private_seg_size, 0
	.set _ZN9rocsparseL28coommnn_general_block_reduceILj1024EiiiEEvT1_S1_PKS1_PKT0_PT2_ll16rocsparse_order_.uses_vcc, 1
	.set _ZN9rocsparseL28coommnn_general_block_reduceILj1024EiiiEEvT1_S1_PKS1_PKT0_PT2_ll16rocsparse_order_.uses_flat_scratch, 0
	.set _ZN9rocsparseL28coommnn_general_block_reduceILj1024EiiiEEvT1_S1_PKS1_PKT0_PT2_ll16rocsparse_order_.has_dyn_sized_stack, 0
	.set _ZN9rocsparseL28coommnn_general_block_reduceILj1024EiiiEEvT1_S1_PKS1_PKT0_PT2_ll16rocsparse_order_.has_recursion, 0
	.set _ZN9rocsparseL28coommnn_general_block_reduceILj1024EiiiEEvT1_S1_PKS1_PKT0_PT2_ll16rocsparse_order_.has_indirect_call, 0
	.section	.AMDGPU.csdata,"",@progbits
; Kernel info:
; codeLenInByte = 1808
; TotalNumSgprs: 48
; NumVgprs: 31
; ScratchSize: 0
; MemoryBound: 0
; FloatMode: 240
; IeeeMode: 1
; LDSByteSize: 8192 bytes/workgroup (compile time only)
; SGPRBlocks: 8
; VGPRBlocks: 7
; NumSGPRsForWavesPerEU: 65
; NumVGPRsForWavesPerEU: 31
; Occupancy: 8
; WaveLimiterHint : 0
; COMPUTE_PGM_RSRC2:SCRATCH_EN: 0
; COMPUTE_PGM_RSRC2:USER_SGPR: 6
; COMPUTE_PGM_RSRC2:TRAP_HANDLER: 0
; COMPUTE_PGM_RSRC2:TGID_X_EN: 1
; COMPUTE_PGM_RSRC2:TGID_Y_EN: 0
; COMPUTE_PGM_RSRC2:TGID_Z_EN: 1
; COMPUTE_PGM_RSRC2:TIDIG_COMP_CNT: 0
	.section	.text._ZN9rocsparseL28coommnn_general_block_reduceILj1024EiliEEvT1_S1_PKS1_PKT0_PT2_ll16rocsparse_order_,"axG",@progbits,_ZN9rocsparseL28coommnn_general_block_reduceILj1024EiliEEvT1_S1_PKS1_PKT0_PT2_ll16rocsparse_order_,comdat
	.globl	_ZN9rocsparseL28coommnn_general_block_reduceILj1024EiliEEvT1_S1_PKS1_PKT0_PT2_ll16rocsparse_order_ ; -- Begin function _ZN9rocsparseL28coommnn_general_block_reduceILj1024EiliEEvT1_S1_PKS1_PKT0_PT2_ll16rocsparse_order_
	.p2align	8
	.type	_ZN9rocsparseL28coommnn_general_block_reduceILj1024EiliEEvT1_S1_PKS1_PKT0_PT2_ll16rocsparse_order_,@function
_ZN9rocsparseL28coommnn_general_block_reduceILj1024EiliEEvT1_S1_PKS1_PKT0_PT2_ll16rocsparse_order_: ; @_ZN9rocsparseL28coommnn_general_block_reduceILj1024EiliEEvT1_S1_PKS1_PKT0_PT2_ll16rocsparse_order_
; %bb.0:
	s_load_dwordx4 s[16:19], s[4:5], 0x0
	s_waitcnt lgkmcnt(0)
	v_cmp_lt_i64_e64 s[0:1], s[18:19], 1
	s_and_b64 vcc, exec, s[0:1]
	s_cbranch_vccnz .LBB9_52
; %bb.1:
	s_load_dwordx8 s[8:15], s[4:5], 0x10
	s_load_dwordx2 s[44:45], s[4:5], 0x30
	s_load_dword s3, s[4:5], 0x38
	s_mov_b32 s2, s7
	s_mov_b32 s7, 0
	s_lshl_b64 s[42:43], s[6:7], 2
	s_waitcnt lgkmcnt(0)
	s_add_u32 s7, s12, s42
	v_subrev_co_u32_e32 v1, vcc, 1, v0
	v_mov_b32_e32 v2, 0x2000
	s_addc_u32 s48, s13, s43
	s_xor_b64 s[4:5], vcc, -1
	v_lshl_add_u32 v11, v1, 2, v2
	v_subrev_co_u32_e32 v1, vcc, 2, v0
	s_xor_b64 s[20:21], vcc, -1
	v_lshl_add_u32 v12, v1, 2, v2
	v_subrev_co_u32_e32 v1, vcc, 4, v0
	;; [unrolled: 3-line block ×6, first 2 shown]
	s_movk_i32 s0, 0x80
	s_xor_b64 s[30:31], vcc, -1
	v_lshl_add_u32 v22, v1, 2, v2
	v_subrev_co_u32_e32 v1, vcc, s0, v0
	s_movk_i32 s0, 0x100
	s_xor_b64 s[34:35], vcc, -1
	v_lshl_add_u32 v24, v1, 2, v2
	v_subrev_co_u32_e32 v1, vcc, s0, v0
	;; [unrolled: 4-line block ×3, first 2 shown]
	s_ashr_i32 s49, s2, 31
	s_xor_b64 s[38:39], vcc, -1
	s_cmp_lg_u32 s3, 1
	s_mul_hi_u32 s3, s44, s2
	s_mul_i32 s33, s44, s49
	s_cselect_b64 s[40:41], -1, 0
	s_add_i32 s3, s3, s33
	s_mul_i32 s33, s45, s2
	s_add_i32 s45, s3, s33
	s_mul_i32 s44, s44, s2
	s_lshl_b64 s[46:47], s[44:45], 2
	s_add_u32 s33, s7, s46
	s_mul_i32 s3, s15, s6
	s_mul_hi_u32 s7, s14, s6
	s_addc_u32 s44, s48, s47
	s_add_i32 s7, s7, s3
	s_mul_i32 s6, s14, s6
	s_lshl_b64 s[6:7], s[6:7], 2
	s_add_u32 s3, s12, s6
	s_addc_u32 s6, s13, s7
	s_add_u32 s12, s3, s46
	s_addc_u32 s13, s6, s47
	s_mul_hi_u32 s3, s18, s2
	s_mul_i32 s6, s18, s49
	s_add_i32 s3, s3, s6
	s_mul_i32 s6, s19, s2
	s_add_i32 s7, s3, s6
	s_mul_i32 s6, s18, s2
	s_lshl_b64 s[6:7], s[6:7], 3
	s_add_u32 s3, s8, s6
	v_lshlrev_b32_e32 v9, 3, v0
	s_addc_u32 s6, s9, s7
	v_lshl_add_u32 v28, v1, 2, v2
	v_mov_b32_e32 v2, s6
	v_add_co_u32_e32 v1, vcc, s3, v9
	s_mul_hi_u32 s3, s16, s2
	s_mul_i32 s6, s16, s49
	s_add_i32 s3, s3, s6
	s_mul_i32 s6, s17, s2
	s_add_i32 s3, s3, s6
	s_mul_i32 s2, s16, s2
	s_lshl_b64 s[2:3], s[2:3], 2
	s_add_u32 s2, s2, s42
	s_addc_u32 s3, s3, s43
	s_mul_i32 s3, s18, s3
	s_mul_hi_u32 s6, s18, s2
	s_add_i32 s3, s6, s3
	s_mul_i32 s6, s19, s2
	s_add_i32 s3, s3, s6
	s_mul_i32 s2, s18, s2
	s_add_u32 s2, s10, s2
	v_lshlrev_b32_e32 v3, 2, v0
	v_addc_co_u32_e32 v2, vcc, 0, v2, vcc
	s_addc_u32 s3, s11, s3
	v_or_b32_e32 v10, 0x2000, v3
	s_movk_i32 s0, 0x3ff
	v_mov_b32_e32 v4, s3
	v_add_co_u32_e32 v3, vcc, s2, v3
	v_subrev_u32_e32 v13, 32, v9
	v_subrev_u32_e32 v15, 64, v9
	v_add_u32_e32 v17, 0xffffff80, v9
	v_add_u32_e32 v19, 0xffffff00, v9
	;; [unrolled: 1-line block ×6, first 2 shown]
	v_cmp_ne_u32_e64 s[0:1], s0, v0
	v_addc_co_u32_e32 v4, vcc, 0, v4, vcc
	s_mov_b64 s[6:7], 0
	s_branch .LBB9_3
.LBB9_2:                                ;   in Loop: Header=BB9_3 Depth=1
	s_or_b64 exec, exec, s[2:3]
	s_add_u32 s6, s6, 0x400
	v_add_co_u32_e32 v1, vcc, 0x2000, v1
	v_mov_b32_e32 v5, s18
	s_addc_u32 s7, s7, 0
	v_addc_co_u32_e32 v2, vcc, 0, v2, vcc
	v_mov_b32_e32 v6, s19
	v_add_co_u32_e32 v3, vcc, 0x1000, v3
	v_cmp_ge_i64_e64 s[2:3], s[6:7], v[5:6]
	v_addc_co_u32_e32 v4, vcc, 0, v4, vcc
	s_and_b64 vcc, exec, s[2:3]
	s_waitcnt vmcnt(0) lgkmcnt(0)
	s_barrier
	s_cbranch_vccnz .LBB9_52
.LBB9_3:                                ; =>This Inner Loop Header: Depth=1
	v_mov_b32_e32 v6, s7
	v_add_co_u32_e32 v5, vcc, s6, v0
	v_addc_co_u32_e32 v6, vcc, 0, v6, vcc
	v_cmp_gt_i64_e32 vcc, s[18:19], v[5:6]
	v_mov_b32_e32 v5, -1
	v_mov_b32_e32 v6, -1
	v_mov_b32_e32 v7, 0
	s_and_saveexec_b64 s[2:3], vcc
	s_cbranch_execz .LBB9_5
; %bb.4:                                ;   in Loop: Header=BB9_3 Depth=1
	global_load_dwordx2 v[5:6], v[1:2], off
	global_load_dword v7, v[3:4], off
.LBB9_5:                                ;   in Loop: Header=BB9_3 Depth=1
	s_or_b64 exec, exec, s[2:3]
	s_waitcnt vmcnt(1)
	ds_write_b64 v9, v[5:6]
	s_waitcnt vmcnt(0)
	ds_write_b32 v10, v7
	v_mov_b32_e32 v5, 0
	v_mov_b32_e32 v6, 0
	s_waitcnt lgkmcnt(0)
	s_barrier
	s_and_saveexec_b64 s[2:3], s[4:5]
	s_cbranch_execz .LBB9_9
; %bb.6:                                ;   in Loop: Header=BB9_3 Depth=1
	v_add_u32_e32 v6, -8, v9
	ds_read2_b64 v[29:32], v6 offset1:1
	v_mov_b32_e32 v6, 0
	s_waitcnt lgkmcnt(0)
	v_cmp_eq_u64_e32 vcc, v[31:32], v[29:30]
	s_and_saveexec_b64 s[8:9], vcc
; %bb.7:                                ;   in Loop: Header=BB9_3 Depth=1
	ds_read_b32 v6, v11
; %bb.8:                                ;   in Loop: Header=BB9_3 Depth=1
	s_or_b64 exec, exec, s[8:9]
.LBB9_9:                                ;   in Loop: Header=BB9_3 Depth=1
	s_or_b64 exec, exec, s[2:3]
	s_waitcnt lgkmcnt(0)
	s_barrier
	ds_read_b32 v7, v10
	s_waitcnt lgkmcnt(0)
	v_add_u32_e32 v6, v7, v6
	ds_write_b32 v10, v6
	s_waitcnt lgkmcnt(0)
	s_barrier
	s_and_saveexec_b64 s[2:3], s[20:21]
	s_cbranch_execz .LBB9_13
; %bb.10:                               ;   in Loop: Header=BB9_3 Depth=1
	v_add_u32_e32 v7, -16, v9
	ds_read_b64 v[5:6], v9
	ds_read_b64 v[7:8], v7
	s_waitcnt lgkmcnt(0)
	v_cmp_eq_u64_e32 vcc, v[5:6], v[7:8]
	v_mov_b32_e32 v5, 0
	s_and_saveexec_b64 s[8:9], vcc
; %bb.11:                               ;   in Loop: Header=BB9_3 Depth=1
	ds_read_b32 v5, v12
; %bb.12:                               ;   in Loop: Header=BB9_3 Depth=1
	s_or_b64 exec, exec, s[8:9]
.LBB9_13:                               ;   in Loop: Header=BB9_3 Depth=1
	s_or_b64 exec, exec, s[2:3]
	s_waitcnt lgkmcnt(0)
	s_barrier
	ds_read_b32 v6, v10
	s_waitcnt lgkmcnt(0)
	v_add_u32_e32 v5, v6, v5
	ds_write_b32 v10, v5
	v_mov_b32_e32 v5, 0
	v_mov_b32_e32 v6, 0
	s_waitcnt lgkmcnt(0)
	s_barrier
	s_and_saveexec_b64 s[2:3], s[22:23]
	s_cbranch_execz .LBB9_17
; %bb.14:                               ;   in Loop: Header=BB9_3 Depth=1
	ds_read_b64 v[6:7], v9
	ds_read_b64 v[29:30], v13
	s_waitcnt lgkmcnt(0)
	v_cmp_eq_u64_e32 vcc, v[6:7], v[29:30]
	v_mov_b32_e32 v6, 0
	s_and_saveexec_b64 s[8:9], vcc
; %bb.15:                               ;   in Loop: Header=BB9_3 Depth=1
	ds_read_b32 v6, v14
; %bb.16:                               ;   in Loop: Header=BB9_3 Depth=1
	s_or_b64 exec, exec, s[8:9]
.LBB9_17:                               ;   in Loop: Header=BB9_3 Depth=1
	s_or_b64 exec, exec, s[2:3]
	s_waitcnt lgkmcnt(0)
	s_barrier
	ds_read_b32 v7, v10
	s_waitcnt lgkmcnt(0)
	v_add_u32_e32 v6, v7, v6
	ds_write_b32 v10, v6
	s_waitcnt lgkmcnt(0)
	s_barrier
	s_and_saveexec_b64 s[2:3], s[24:25]
	s_cbranch_execz .LBB9_21
; %bb.18:                               ;   in Loop: Header=BB9_3 Depth=1
	ds_read_b64 v[5:6], v9
	ds_read_b64 v[7:8], v15
	s_waitcnt lgkmcnt(0)
	v_cmp_eq_u64_e32 vcc, v[5:6], v[7:8]
	v_mov_b32_e32 v5, 0
	s_and_saveexec_b64 s[8:9], vcc
; %bb.19:                               ;   in Loop: Header=BB9_3 Depth=1
	ds_read_b32 v5, v16
; %bb.20:                               ;   in Loop: Header=BB9_3 Depth=1
	s_or_b64 exec, exec, s[8:9]
.LBB9_21:                               ;   in Loop: Header=BB9_3 Depth=1
	s_or_b64 exec, exec, s[2:3]
	s_waitcnt lgkmcnt(0)
	s_barrier
	ds_read_b32 v6, v10
	s_waitcnt lgkmcnt(0)
	v_add_u32_e32 v5, v6, v5
	ds_write_b32 v10, v5
	v_mov_b32_e32 v5, 0
	v_mov_b32_e32 v6, 0
	s_waitcnt lgkmcnt(0)
	s_barrier
	s_and_saveexec_b64 s[2:3], s[26:27]
	s_cbranch_execz .LBB9_25
; %bb.22:                               ;   in Loop: Header=BB9_3 Depth=1
	ds_read_b64 v[6:7], v9
	ds_read_b64 v[29:30], v17
	s_waitcnt lgkmcnt(0)
	v_cmp_eq_u64_e32 vcc, v[6:7], v[29:30]
	v_mov_b32_e32 v6, 0
	s_and_saveexec_b64 s[8:9], vcc
; %bb.23:                               ;   in Loop: Header=BB9_3 Depth=1
	ds_read_b32 v6, v18
; %bb.24:                               ;   in Loop: Header=BB9_3 Depth=1
	s_or_b64 exec, exec, s[8:9]
.LBB9_25:                               ;   in Loop: Header=BB9_3 Depth=1
	s_or_b64 exec, exec, s[2:3]
	s_waitcnt lgkmcnt(0)
	s_barrier
	ds_read_b32 v7, v10
	s_waitcnt lgkmcnt(0)
	v_add_u32_e32 v6, v7, v6
	ds_write_b32 v10, v6
	s_waitcnt lgkmcnt(0)
	s_barrier
	s_and_saveexec_b64 s[2:3], s[28:29]
	s_cbranch_execz .LBB9_29
; %bb.26:                               ;   in Loop: Header=BB9_3 Depth=1
	ds_read_b64 v[5:6], v9
	ds_read_b64 v[7:8], v19
	s_waitcnt lgkmcnt(0)
	v_cmp_eq_u64_e32 vcc, v[5:6], v[7:8]
	v_mov_b32_e32 v5, 0
	s_and_saveexec_b64 s[8:9], vcc
; %bb.27:                               ;   in Loop: Header=BB9_3 Depth=1
	ds_read_b32 v5, v20
; %bb.28:                               ;   in Loop: Header=BB9_3 Depth=1
	s_or_b64 exec, exec, s[8:9]
.LBB9_29:                               ;   in Loop: Header=BB9_3 Depth=1
	;; [unrolled: 48-line block ×4, first 2 shown]
	s_or_b64 exec, exec, s[2:3]
	s_waitcnt lgkmcnt(0)
	s_barrier
	ds_read_b32 v6, v10
	v_mov_b32_e32 v7, -1
	v_mov_b32_e32 v8, -1
	s_waitcnt lgkmcnt(0)
	v_add_u32_e32 v5, v6, v5
	ds_write_b32 v10, v5
	s_waitcnt lgkmcnt(0)
	s_barrier
	ds_read_b64 v[5:6], v9
	s_and_saveexec_b64 s[2:3], s[0:1]
; %bb.46:                               ;   in Loop: Header=BB9_3 Depth=1
	ds_read_b64 v[7:8], v9 offset:8
; %bb.47:                               ;   in Loop: Header=BB9_3 Depth=1
	s_or_b64 exec, exec, s[2:3]
	s_waitcnt lgkmcnt(0)
	v_cmp_ne_u64_e32 vcc, v[5:6], v[7:8]
	v_cmp_lt_i64_e64 s[2:3], -1, v[5:6]
	s_and_b64 s[8:9], s[2:3], vcc
	s_and_saveexec_b64 s[2:3], s[8:9]
	s_cbranch_execz .LBB9_2
; %bb.48:                               ;   in Loop: Header=BB9_3 Depth=1
	ds_read_b32 v7, v10
	s_mov_b64 s[8:9], -1
	s_and_b64 vcc, exec, s[40:41]
	s_cbranch_vccz .LBB9_50
; %bb.49:                               ;   in Loop: Header=BB9_3 Depth=1
	v_mul_lo_u32 v8, v6, s14
	v_mul_lo_u32 v31, v5, s15
	v_mad_u64_u32 v[29:30], s[8:9], v5, s14, 0
	s_mov_b64 s[8:9], 0
	v_add3_u32 v30, v30, v31, v8
	v_lshlrev_b64 v[29:30], 2, v[29:30]
	v_mov_b32_e32 v8, s44
	v_add_co_u32_e32 v29, vcc, s33, v29
	v_addc_co_u32_e32 v30, vcc, v8, v30, vcc
	global_load_dword v8, v[29:30], off
	s_waitcnt vmcnt(0) lgkmcnt(0)
	v_add_u32_e32 v8, v8, v7
	global_store_dword v[29:30], v8, off
.LBB9_50:                               ;   in Loop: Header=BB9_3 Depth=1
	s_andn2_b64 vcc, exec, s[8:9]
	s_cbranch_vccnz .LBB9_2
; %bb.51:                               ;   in Loop: Header=BB9_3 Depth=1
	v_lshlrev_b64 v[5:6], 2, v[5:6]
	v_mov_b32_e32 v8, s13
	v_add_co_u32_e32 v5, vcc, s12, v5
	v_addc_co_u32_e32 v6, vcc, v8, v6, vcc
	global_load_dword v8, v[5:6], off
	s_waitcnt vmcnt(0) lgkmcnt(0)
	v_add_u32_e32 v7, v8, v7
	global_store_dword v[5:6], v7, off
	s_branch .LBB9_2
.LBB9_52:
	s_endpgm
	.section	.rodata,"a",@progbits
	.p2align	6, 0x0
	.amdhsa_kernel _ZN9rocsparseL28coommnn_general_block_reduceILj1024EiliEEvT1_S1_PKS1_PKT0_PT2_ll16rocsparse_order_
		.amdhsa_group_segment_fixed_size 12288
		.amdhsa_private_segment_fixed_size 0
		.amdhsa_kernarg_size 60
		.amdhsa_user_sgpr_count 6
		.amdhsa_user_sgpr_private_segment_buffer 1
		.amdhsa_user_sgpr_dispatch_ptr 0
		.amdhsa_user_sgpr_queue_ptr 0
		.amdhsa_user_sgpr_kernarg_segment_ptr 1
		.amdhsa_user_sgpr_dispatch_id 0
		.amdhsa_user_sgpr_flat_scratch_init 0
		.amdhsa_user_sgpr_private_segment_size 0
		.amdhsa_uses_dynamic_stack 0
		.amdhsa_system_sgpr_private_segment_wavefront_offset 0
		.amdhsa_system_sgpr_workgroup_id_x 1
		.amdhsa_system_sgpr_workgroup_id_y 0
		.amdhsa_system_sgpr_workgroup_id_z 1
		.amdhsa_system_sgpr_workgroup_info 0
		.amdhsa_system_vgpr_workitem_id 0
		.amdhsa_next_free_vgpr 33
		.amdhsa_next_free_sgpr 61
		.amdhsa_reserve_vcc 1
		.amdhsa_reserve_flat_scratch 0
		.amdhsa_float_round_mode_32 0
		.amdhsa_float_round_mode_16_64 0
		.amdhsa_float_denorm_mode_32 3
		.amdhsa_float_denorm_mode_16_64 3
		.amdhsa_dx10_clamp 1
		.amdhsa_ieee_mode 1
		.amdhsa_fp16_overflow 0
		.amdhsa_exception_fp_ieee_invalid_op 0
		.amdhsa_exception_fp_denorm_src 0
		.amdhsa_exception_fp_ieee_div_zero 0
		.amdhsa_exception_fp_ieee_overflow 0
		.amdhsa_exception_fp_ieee_underflow 0
		.amdhsa_exception_fp_ieee_inexact 0
		.amdhsa_exception_int_div_zero 0
	.end_amdhsa_kernel
	.section	.text._ZN9rocsparseL28coommnn_general_block_reduceILj1024EiliEEvT1_S1_PKS1_PKT0_PT2_ll16rocsparse_order_,"axG",@progbits,_ZN9rocsparseL28coommnn_general_block_reduceILj1024EiliEEvT1_S1_PKS1_PKT0_PT2_ll16rocsparse_order_,comdat
.Lfunc_end9:
	.size	_ZN9rocsparseL28coommnn_general_block_reduceILj1024EiliEEvT1_S1_PKS1_PKT0_PT2_ll16rocsparse_order_, .Lfunc_end9-_ZN9rocsparseL28coommnn_general_block_reduceILj1024EiliEEvT1_S1_PKS1_PKT0_PT2_ll16rocsparse_order_
                                        ; -- End function
	.set _ZN9rocsparseL28coommnn_general_block_reduceILj1024EiliEEvT1_S1_PKS1_PKT0_PT2_ll16rocsparse_order_.num_vgpr, 33
	.set _ZN9rocsparseL28coommnn_general_block_reduceILj1024EiliEEvT1_S1_PKS1_PKT0_PT2_ll16rocsparse_order_.num_agpr, 0
	.set _ZN9rocsparseL28coommnn_general_block_reduceILj1024EiliEEvT1_S1_PKS1_PKT0_PT2_ll16rocsparse_order_.numbered_sgpr, 50
	.set _ZN9rocsparseL28coommnn_general_block_reduceILj1024EiliEEvT1_S1_PKS1_PKT0_PT2_ll16rocsparse_order_.num_named_barrier, 0
	.set _ZN9rocsparseL28coommnn_general_block_reduceILj1024EiliEEvT1_S1_PKS1_PKT0_PT2_ll16rocsparse_order_.private_seg_size, 0
	.set _ZN9rocsparseL28coommnn_general_block_reduceILj1024EiliEEvT1_S1_PKS1_PKT0_PT2_ll16rocsparse_order_.uses_vcc, 1
	.set _ZN9rocsparseL28coommnn_general_block_reduceILj1024EiliEEvT1_S1_PKS1_PKT0_PT2_ll16rocsparse_order_.uses_flat_scratch, 0
	.set _ZN9rocsparseL28coommnn_general_block_reduceILj1024EiliEEvT1_S1_PKS1_PKT0_PT2_ll16rocsparse_order_.has_dyn_sized_stack, 0
	.set _ZN9rocsparseL28coommnn_general_block_reduceILj1024EiliEEvT1_S1_PKS1_PKT0_PT2_ll16rocsparse_order_.has_recursion, 0
	.set _ZN9rocsparseL28coommnn_general_block_reduceILj1024EiliEEvT1_S1_PKS1_PKT0_PT2_ll16rocsparse_order_.has_indirect_call, 0
	.section	.AMDGPU.csdata,"",@progbits
; Kernel info:
; codeLenInByte = 1940
; TotalNumSgprs: 54
; NumVgprs: 33
; ScratchSize: 0
; MemoryBound: 0
; FloatMode: 240
; IeeeMode: 1
; LDSByteSize: 12288 bytes/workgroup (compile time only)
; SGPRBlocks: 8
; VGPRBlocks: 8
; NumSGPRsForWavesPerEU: 65
; NumVGPRsForWavesPerEU: 33
; Occupancy: 7
; WaveLimiterHint : 0
; COMPUTE_PGM_RSRC2:SCRATCH_EN: 0
; COMPUTE_PGM_RSRC2:USER_SGPR: 6
; COMPUTE_PGM_RSRC2:TRAP_HANDLER: 0
; COMPUTE_PGM_RSRC2:TGID_X_EN: 1
; COMPUTE_PGM_RSRC2:TGID_Y_EN: 0
; COMPUTE_PGM_RSRC2:TGID_Z_EN: 1
; COMPUTE_PGM_RSRC2:TIDIG_COMP_CNT: 0
	.section	.AMDGPU.gpr_maximums,"",@progbits
	.set amdgpu.max_num_vgpr, 0
	.set amdgpu.max_num_agpr, 0
	.set amdgpu.max_num_sgpr, 0
	.section	.AMDGPU.csdata,"",@progbits
	.type	__hip_cuid_98023735c1f2a642,@object ; @__hip_cuid_98023735c1f2a642
	.section	.bss,"aw",@nobits
	.globl	__hip_cuid_98023735c1f2a642
__hip_cuid_98023735c1f2a642:
	.byte	0                               ; 0x0
	.size	__hip_cuid_98023735c1f2a642, 1

	.ident	"AMD clang version 22.0.0git (https://github.com/RadeonOpenCompute/llvm-project roc-7.2.4 26084 f58b06dce1f9c15707c5f808fd002e18c2accf7e)"
	.section	".note.GNU-stack","",@progbits
	.addrsig
	.addrsig_sym __hip_cuid_98023735c1f2a642
	.amdgpu_metadata
---
amdhsa.kernels:
  - .args:
      - .offset:         0
        .size:           4
        .value_kind:     by_value
      - .offset:         4
        .size:           4
        .value_kind:     by_value
      - .actual_access:  read_only
        .address_space:  global
        .offset:         8
        .size:           8
        .value_kind:     global_buffer
      - .actual_access:  read_only
        .address_space:  global
        .offset:         16
        .size:           8
        .value_kind:     global_buffer
      - .address_space:  global
        .offset:         24
        .size:           8
        .value_kind:     global_buffer
      - .offset:         32
        .size:           8
        .value_kind:     by_value
      - .offset:         40
        .size:           8
        .value_kind:     by_value
      - .offset:         48
        .size:           4
        .value_kind:     by_value
    .group_segment_fixed_size: 8192
    .kernarg_segment_align: 8
    .kernarg_segment_size: 52
    .language:       OpenCL C
    .language_version:
      - 2
      - 0
    .max_flat_workgroup_size: 1024
    .name:           _ZN9rocsparseL28coommnn_general_block_reduceILj1024EfifEEvT1_S1_PKS1_PKT0_PT2_ll16rocsparse_order_
    .private_segment_fixed_size: 0
    .sgpr_count:     48
    .sgpr_spill_count: 0
    .symbol:         _ZN9rocsparseL28coommnn_general_block_reduceILj1024EfifEEvT1_S1_PKS1_PKT0_PT2_ll16rocsparse_order_.kd
    .uniform_work_group_size: 1
    .uses_dynamic_stack: false
    .vgpr_count:     31
    .vgpr_spill_count: 0
    .wavefront_size: 64
  - .args:
      - .offset:         0
        .size:           8
        .value_kind:     by_value
      - .offset:         8
        .size:           8
        .value_kind:     by_value
      - .actual_access:  read_only
        .address_space:  global
        .offset:         16
        .size:           8
        .value_kind:     global_buffer
      - .actual_access:  read_only
        .address_space:  global
        .offset:         24
        .size:           8
        .value_kind:     global_buffer
      - .address_space:  global
        .offset:         32
        .size:           8
        .value_kind:     global_buffer
      - .offset:         40
        .size:           8
        .value_kind:     by_value
      - .offset:         48
        .size:           8
        .value_kind:     by_value
      - .offset:         56
        .size:           4
        .value_kind:     by_value
    .group_segment_fixed_size: 12288
    .kernarg_segment_align: 8
    .kernarg_segment_size: 60
    .language:       OpenCL C
    .language_version:
      - 2
      - 0
    .max_flat_workgroup_size: 1024
    .name:           _ZN9rocsparseL28coommnn_general_block_reduceILj1024EflfEEvT1_S1_PKS1_PKT0_PT2_ll16rocsparse_order_
    .private_segment_fixed_size: 0
    .sgpr_count:     54
    .sgpr_spill_count: 0
    .symbol:         _ZN9rocsparseL28coommnn_general_block_reduceILj1024EflfEEvT1_S1_PKS1_PKT0_PT2_ll16rocsparse_order_.kd
    .uniform_work_group_size: 1
    .uses_dynamic_stack: false
    .vgpr_count:     33
    .vgpr_spill_count: 0
    .wavefront_size: 64
  - .args:
      - .offset:         0
        .size:           4
        .value_kind:     by_value
      - .offset:         4
        .size:           4
        .value_kind:     by_value
      - .actual_access:  read_only
        .address_space:  global
        .offset:         8
        .size:           8
        .value_kind:     global_buffer
      - .actual_access:  read_only
        .address_space:  global
        .offset:         16
        .size:           8
        .value_kind:     global_buffer
      - .address_space:  global
        .offset:         24
        .size:           8
        .value_kind:     global_buffer
      - .offset:         32
        .size:           8
        .value_kind:     by_value
      - .offset:         40
        .size:           8
        .value_kind:     by_value
      - .offset:         48
        .size:           4
        .value_kind:     by_value
    .group_segment_fixed_size: 12288
    .kernarg_segment_align: 8
    .kernarg_segment_size: 52
    .language:       OpenCL C
    .language_version:
      - 2
      - 0
    .max_flat_workgroup_size: 1024
    .name:           _ZN9rocsparseL28coommnn_general_block_reduceILj1024EdidEEvT1_S1_PKS1_PKT0_PT2_ll16rocsparse_order_
    .private_segment_fixed_size: 0
    .sgpr_count:     48
    .sgpr_spill_count: 0
    .symbol:         _ZN9rocsparseL28coommnn_general_block_reduceILj1024EdidEEvT1_S1_PKS1_PKT0_PT2_ll16rocsparse_order_.kd
    .uniform_work_group_size: 1
    .uses_dynamic_stack: false
    .vgpr_count:     30
    .vgpr_spill_count: 0
    .wavefront_size: 64
  - .args:
      - .offset:         0
        .size:           8
        .value_kind:     by_value
      - .offset:         8
        .size:           8
        .value_kind:     by_value
      - .actual_access:  read_only
        .address_space:  global
        .offset:         16
        .size:           8
        .value_kind:     global_buffer
      - .actual_access:  read_only
        .address_space:  global
        .offset:         24
        .size:           8
        .value_kind:     global_buffer
      - .address_space:  global
        .offset:         32
        .size:           8
        .value_kind:     global_buffer
      - .offset:         40
        .size:           8
        .value_kind:     by_value
      - .offset:         48
        .size:           8
        .value_kind:     by_value
      - .offset:         56
        .size:           4
        .value_kind:     by_value
    .group_segment_fixed_size: 16384
    .kernarg_segment_align: 8
    .kernarg_segment_size: 60
    .language:       OpenCL C
    .language_version:
      - 2
      - 0
    .max_flat_workgroup_size: 1024
    .name:           _ZN9rocsparseL28coommnn_general_block_reduceILj1024EdldEEvT1_S1_PKS1_PKT0_PT2_ll16rocsparse_order_
    .private_segment_fixed_size: 0
    .sgpr_count:     54
    .sgpr_spill_count: 0
    .symbol:         _ZN9rocsparseL28coommnn_general_block_reduceILj1024EdldEEvT1_S1_PKS1_PKT0_PT2_ll16rocsparse_order_.kd
    .uniform_work_group_size: 1
    .uses_dynamic_stack: false
    .vgpr_count:     34
    .vgpr_spill_count: 0
    .wavefront_size: 64
  - .args:
      - .offset:         0
        .size:           4
        .value_kind:     by_value
      - .offset:         4
        .size:           4
        .value_kind:     by_value
      - .actual_access:  read_only
        .address_space:  global
        .offset:         8
        .size:           8
        .value_kind:     global_buffer
      - .actual_access:  read_only
        .address_space:  global
        .offset:         16
        .size:           8
        .value_kind:     global_buffer
      - .address_space:  global
        .offset:         24
        .size:           8
        .value_kind:     global_buffer
      - .offset:         32
        .size:           8
        .value_kind:     by_value
      - .offset:         40
        .size:           8
        .value_kind:     by_value
      - .offset:         48
        .size:           4
        .value_kind:     by_value
    .group_segment_fixed_size: 12288
    .kernarg_segment_align: 8
    .kernarg_segment_size: 52
    .language:       OpenCL C
    .language_version:
      - 2
      - 0
    .max_flat_workgroup_size: 1024
    .name:           _ZN9rocsparseL28coommnn_general_block_reduceILj1024E21rocsparse_complex_numIfEiS2_EEvT1_S3_PKS3_PKT0_PT2_ll16rocsparse_order_
    .private_segment_fixed_size: 0
    .sgpr_count:     48
    .sgpr_spill_count: 0
    .symbol:         _ZN9rocsparseL28coommnn_general_block_reduceILj1024E21rocsparse_complex_numIfEiS2_EEvT1_S3_PKS3_PKT0_PT2_ll16rocsparse_order_.kd
    .uniform_work_group_size: 1
    .uses_dynamic_stack: false
    .vgpr_count:     31
    .vgpr_spill_count: 0
    .wavefront_size: 64
  - .args:
      - .offset:         0
        .size:           8
        .value_kind:     by_value
      - .offset:         8
        .size:           8
        .value_kind:     by_value
      - .actual_access:  read_only
        .address_space:  global
        .offset:         16
        .size:           8
        .value_kind:     global_buffer
      - .actual_access:  read_only
        .address_space:  global
        .offset:         24
        .size:           8
        .value_kind:     global_buffer
      - .address_space:  global
        .offset:         32
        .size:           8
        .value_kind:     global_buffer
      - .offset:         40
        .size:           8
        .value_kind:     by_value
      - .offset:         48
        .size:           8
        .value_kind:     by_value
      - .offset:         56
        .size:           4
        .value_kind:     by_value
    .group_segment_fixed_size: 16384
    .kernarg_segment_align: 8
    .kernarg_segment_size: 60
    .language:       OpenCL C
    .language_version:
      - 2
      - 0
    .max_flat_workgroup_size: 1024
    .name:           _ZN9rocsparseL28coommnn_general_block_reduceILj1024E21rocsparse_complex_numIfElS2_EEvT1_S3_PKS3_PKT0_PT2_ll16rocsparse_order_
    .private_segment_fixed_size: 0
    .sgpr_count:     54
    .sgpr_spill_count: 0
    .symbol:         _ZN9rocsparseL28coommnn_general_block_reduceILj1024E21rocsparse_complex_numIfElS2_EEvT1_S3_PKS3_PKT0_PT2_ll16rocsparse_order_.kd
    .uniform_work_group_size: 1
    .uses_dynamic_stack: false
    .vgpr_count:     31
    .vgpr_spill_count: 0
    .wavefront_size: 64
  - .args:
      - .offset:         0
        .size:           4
        .value_kind:     by_value
      - .offset:         4
        .size:           4
        .value_kind:     by_value
      - .actual_access:  read_only
        .address_space:  global
        .offset:         8
        .size:           8
        .value_kind:     global_buffer
      - .actual_access:  read_only
        .address_space:  global
        .offset:         16
        .size:           8
        .value_kind:     global_buffer
      - .address_space:  global
        .offset:         24
        .size:           8
        .value_kind:     global_buffer
      - .offset:         32
        .size:           8
        .value_kind:     by_value
      - .offset:         40
        .size:           8
        .value_kind:     by_value
      - .offset:         48
        .size:           4
        .value_kind:     by_value
    .group_segment_fixed_size: 20480
    .kernarg_segment_align: 8
    .kernarg_segment_size: 52
    .language:       OpenCL C
    .language_version:
      - 2
      - 0
    .max_flat_workgroup_size: 1024
    .name:           _ZN9rocsparseL28coommnn_general_block_reduceILj1024E21rocsparse_complex_numIdEiS2_EEvT1_S3_PKS3_PKT0_PT2_ll16rocsparse_order_
    .private_segment_fixed_size: 0
    .sgpr_count:     48
    .sgpr_spill_count: 0
    .symbol:         _ZN9rocsparseL28coommnn_general_block_reduceILj1024E21rocsparse_complex_numIdEiS2_EEvT1_S3_PKS3_PKT0_PT2_ll16rocsparse_order_.kd
    .uniform_work_group_size: 1
    .uses_dynamic_stack: false
    .vgpr_count:     35
    .vgpr_spill_count: 0
    .wavefront_size: 64
  - .args:
      - .offset:         0
        .size:           8
        .value_kind:     by_value
      - .offset:         8
        .size:           8
        .value_kind:     by_value
      - .actual_access:  read_only
        .address_space:  global
        .offset:         16
        .size:           8
        .value_kind:     global_buffer
      - .actual_access:  read_only
        .address_space:  global
        .offset:         24
        .size:           8
        .value_kind:     global_buffer
      - .address_space:  global
        .offset:         32
        .size:           8
        .value_kind:     global_buffer
      - .offset:         40
        .size:           8
        .value_kind:     by_value
      - .offset:         48
        .size:           8
        .value_kind:     by_value
      - .offset:         56
        .size:           4
        .value_kind:     by_value
    .group_segment_fixed_size: 24576
    .kernarg_segment_align: 8
    .kernarg_segment_size: 60
    .language:       OpenCL C
    .language_version:
      - 2
      - 0
    .max_flat_workgroup_size: 1024
    .name:           _ZN9rocsparseL28coommnn_general_block_reduceILj1024E21rocsparse_complex_numIdElS2_EEvT1_S3_PKS3_PKT0_PT2_ll16rocsparse_order_
    .private_segment_fixed_size: 0
    .sgpr_count:     54
    .sgpr_spill_count: 0
    .symbol:         _ZN9rocsparseL28coommnn_general_block_reduceILj1024E21rocsparse_complex_numIdElS2_EEvT1_S3_PKS3_PKT0_PT2_ll16rocsparse_order_.kd
    .uniform_work_group_size: 1
    .uses_dynamic_stack: false
    .vgpr_count:     38
    .vgpr_spill_count: 0
    .wavefront_size: 64
  - .args:
      - .offset:         0
        .size:           4
        .value_kind:     by_value
      - .offset:         4
        .size:           4
        .value_kind:     by_value
      - .actual_access:  read_only
        .address_space:  global
        .offset:         8
        .size:           8
        .value_kind:     global_buffer
      - .actual_access:  read_only
        .address_space:  global
        .offset:         16
        .size:           8
        .value_kind:     global_buffer
      - .address_space:  global
        .offset:         24
        .size:           8
        .value_kind:     global_buffer
      - .offset:         32
        .size:           8
        .value_kind:     by_value
      - .offset:         40
        .size:           8
        .value_kind:     by_value
      - .offset:         48
        .size:           4
        .value_kind:     by_value
    .group_segment_fixed_size: 8192
    .kernarg_segment_align: 8
    .kernarg_segment_size: 52
    .language:       OpenCL C
    .language_version:
      - 2
      - 0
    .max_flat_workgroup_size: 1024
    .name:           _ZN9rocsparseL28coommnn_general_block_reduceILj1024EiiiEEvT1_S1_PKS1_PKT0_PT2_ll16rocsparse_order_
    .private_segment_fixed_size: 0
    .sgpr_count:     48
    .sgpr_spill_count: 0
    .symbol:         _ZN9rocsparseL28coommnn_general_block_reduceILj1024EiiiEEvT1_S1_PKS1_PKT0_PT2_ll16rocsparse_order_.kd
    .uniform_work_group_size: 1
    .uses_dynamic_stack: false
    .vgpr_count:     31
    .vgpr_spill_count: 0
    .wavefront_size: 64
  - .args:
      - .offset:         0
        .size:           8
        .value_kind:     by_value
      - .offset:         8
        .size:           8
        .value_kind:     by_value
      - .actual_access:  read_only
        .address_space:  global
        .offset:         16
        .size:           8
        .value_kind:     global_buffer
      - .actual_access:  read_only
        .address_space:  global
        .offset:         24
        .size:           8
        .value_kind:     global_buffer
      - .address_space:  global
        .offset:         32
        .size:           8
        .value_kind:     global_buffer
      - .offset:         40
        .size:           8
        .value_kind:     by_value
      - .offset:         48
        .size:           8
        .value_kind:     by_value
      - .offset:         56
        .size:           4
        .value_kind:     by_value
    .group_segment_fixed_size: 12288
    .kernarg_segment_align: 8
    .kernarg_segment_size: 60
    .language:       OpenCL C
    .language_version:
      - 2
      - 0
    .max_flat_workgroup_size: 1024
    .name:           _ZN9rocsparseL28coommnn_general_block_reduceILj1024EiliEEvT1_S1_PKS1_PKT0_PT2_ll16rocsparse_order_
    .private_segment_fixed_size: 0
    .sgpr_count:     54
    .sgpr_spill_count: 0
    .symbol:         _ZN9rocsparseL28coommnn_general_block_reduceILj1024EiliEEvT1_S1_PKS1_PKT0_PT2_ll16rocsparse_order_.kd
    .uniform_work_group_size: 1
    .uses_dynamic_stack: false
    .vgpr_count:     33
    .vgpr_spill_count: 0
    .wavefront_size: 64
amdhsa.target:   amdgcn-amd-amdhsa--gfx906
amdhsa.version:
  - 1
  - 2
...

	.end_amdgpu_metadata
